;; amdgpu-corpus repo=ROCm/rocBLAS kind=compiled arch=gfx1250 opt=O3
	.amdgcn_target "amdgcn-amd-amdhsa--gfx1250"
	.amdhsa_code_object_version 6
	.section	.text._ZL19rocblas_hpmv_kernelILi64ELi16EPK19rocblas_complex_numIfES3_PS1_EvbiT1_T2_llS6_lllS5_T3_llli,"axG",@progbits,_ZL19rocblas_hpmv_kernelILi64ELi16EPK19rocblas_complex_numIfES3_PS1_EvbiT1_T2_llS6_lllS5_T3_llli,comdat
	.globl	_ZL19rocblas_hpmv_kernelILi64ELi16EPK19rocblas_complex_numIfES3_PS1_EvbiT1_T2_llS6_lllS5_T3_llli ; -- Begin function _ZL19rocblas_hpmv_kernelILi64ELi16EPK19rocblas_complex_numIfES3_PS1_EvbiT1_T2_llS6_lllS5_T3_llli
	.p2align	8
	.type	_ZL19rocblas_hpmv_kernelILi64ELi16EPK19rocblas_complex_numIfES3_PS1_EvbiT1_T2_llS6_lllS5_T3_llli,@function
_ZL19rocblas_hpmv_kernelILi64ELi16EPK19rocblas_complex_numIfES3_PS1_EvbiT1_T2_llS6_lllS5_T3_llli: ; @_ZL19rocblas_hpmv_kernelILi64ELi16EPK19rocblas_complex_numIfES3_PS1_EvbiT1_T2_llS6_lllS5_T3_llli
; %bb.0:
	s_clause 0x1
	s_load_b512 s[4:19], s[0:1], 0x8
	s_load_b256 s[20:27], s[0:1], 0x48
	s_wait_kmcnt 0x0
	s_load_b64 s[28:29], s[4:5], 0x0
	s_load_b64 s[30:31], s[20:21], 0x0
	s_wait_kmcnt 0x0
	s_cmp_eq_f32 s28, 0
	s_cselect_b32 s2, -1, 0
	s_cmp_eq_f32 s29, 0
	s_cselect_b32 s3, -1, 0
	s_delay_alu instid0(SALU_CYCLE_1) | instskip(SKIP_4) | instid1(SALU_CYCLE_1)
	s_and_b32 s2, s2, s3
	s_cmp_eq_f32 s30, 1.0
	s_cselect_b32 s3, -1, 0
	s_cmp_eq_f32 s31, 0
	s_cselect_b32 s4, -1, 0
	s_and_b32 s3, s3, s4
	s_delay_alu instid0(SALU_CYCLE_1) | instskip(NEXT) | instid1(SALU_CYCLE_1)
	s_and_b32 s2, s2, s3
	s_and_b32 vcc_lo, exec_lo, s2
	s_cbranch_vccnz .LBB0_25
; %bb.1:
	s_load_b32 s33, s[0:1], 0x70
	s_bfe_u32 s2, ttmp6, 0x40014
	s_lshr_b32 s4, ttmp7, 16
	s_add_co_i32 s2, s2, 1
	s_bfe_u32 s5, ttmp6, 0x40008
	s_mul_i32 s2, s4, s2
	s_getreg_b32 s3, hwreg(HW_REG_IB_STS2, 6, 4)
	s_add_co_i32 s5, s5, s2
	s_cmp_eq_u32 s3, 0
	s_cselect_b32 s20, s4, s5
	s_wait_kmcnt 0x0
	s_cmp_ge_u32 s20, s33
	s_cbranch_scc1 .LBB0_25
; %bb.2:
	s_load_b64 s[4:5], s[0:1], 0x0
	s_lshl_b64 s[36:37], s[8:9], 3
	s_lshl_b64 s[38:39], s[24:25], 3
	v_bfe_u32 v6, v0, 10, 10
	v_and_b32_e32 v7, 0x3ff, v0
	s_add_nc_u64 s[22:23], s[22:23], s[38:39]
	s_add_nc_u64 s[6:7], s[6:7], s[36:37]
	s_mov_b32 s21, 0
	s_mov_b32 s24, s31
	v_lshl_add_u32 v10, v6, 6, v7
	s_mov_b32 s25, s30
	s_mov_b32 s34, s29
	;; [unrolled: 1-line block ×3, first 2 shown]
	v_and_b32_e32 v11, 63, v0
	v_cmp_gt_u32_e32 vcc_lo, 64, v10
	v_lshlrev_b32_e32 v12, 9, v6
	s_delay_alu instid0(VALU_DEP_3)
	v_and_or_b32 v13, 0x1ffc0, v10, v11
	s_wait_kmcnt 0x0
	s_bitcmp1_b32 s4, 0
	s_mov_b32 s38, s5
	s_cselect_b32 s2, -1, 0
	s_bfe_u32 s4, ttmp6, 0x4000c
	s_and_b32 s8, ttmp6, 15
	s_add_co_i32 s4, s4, 1
	v_lshlrev_b32_e32 v16, 3, v13
	s_mul_i32 s4, ttmp9, s4
	s_delay_alu instid0(SALU_CYCLE_1)
	s_add_co_i32 s8, s8, s4
	s_cmp_eq_u32 s3, 0
	s_cselect_b32 s3, ttmp9, s8
	s_load_b64 s[8:9], s[0:1], 0x68
	v_add_nc_u32_e32 v1, s3, v6
	s_wait_xcnt 0x0
	s_or_b32 s0, s28, s29
	v_lshl_or_b32 v17, s3, 6, v11
	s_bitset0_b32 s0, 31
	v_lshl_add_u32 v2, v1, 6, v7
	s_cmp_eq_u32 s0, 0
	s_delay_alu instid0(VALU_DEP_2) | instskip(NEXT) | instid1(VALU_DEP_2)
	v_cmp_gt_i32_e64 s1, s5, v17
	v_ashrrev_i32_e32 v3, 31, v2
	v_cmp_gt_i32_e64 s3, s5, v2
	s_delay_alu instid0(VALU_DEP_2) | instskip(SKIP_1) | instid1(VALU_DEP_1)
	v_mul_u64_e32 v[4:5], s[26:27], v[2:3]
	v_dual_mov_b32 v3, 0 :: v_dual_lshrrev_b32 v0, 6, v10
	v_mov_b32_e32 v1, v3
	s_delay_alu instid0(VALU_DEP_2) | instskip(NEXT) | instid1(VALU_DEP_2)
	v_cmp_gt_i32_e64 s0, s5, v0
	v_mul_u64_e32 v[8:9], s[16:17], v[0:1]
	v_lshlrev_b32_e32 v1, 3, v7
	v_mul_u64_e32 v[6:7], s[26:27], v[2:3]
	s_cselect_b32 s26, -1, 0
	s_cmp_neq_f32 s30, 0
	s_delay_alu instid0(VALU_DEP_2)
	v_add_nc_u32_e32 v1, v1, v12
	s_cselect_b32 s4, -1, 0
	s_cmp_neq_f32 s31, 0
	s_cselect_b32 s40, -1, 0
	s_and_b32 s27, vcc_lo, s1
	s_ashr_i32 s39, s5, 31
	s_lshl_b64 s[14:15], s[14:15], 3
	s_and_b32 s37, s27, s3
	s_add_nc_u64 s[12:13], s[12:13], s[14:15]
	v_cmp_gt_i64_e64 s3, s[38:39], v[2:3]
	s_lshl_b32 s36, s5, 1
	s_or_b32 s38, s4, s40
	s_or_b32 s36, s36, 1
	s_lshl_b64 s[14:15], s[16:17], 7
	s_xor_b32 s39, s2, -1
	v_lshl_add_u64 v[8:9], v[8:9], 3, s[12:13]
	s_lshl_b64 s[12:13], s[18:19], 3
	s_branch .LBB0_6
.LBB0_3:                                ;   in Loop: Header=BB0_6 Depth=1
	s_delay_alu instid0(VALU_DEP_1)
	v_mov_b32_e32 v11, v15
	global_store_b64 v[12:13], v[10:11], off
.LBB0_4:                                ;   in Loop: Header=BB0_6 Depth=1
	s_wait_xcnt 0x0
	s_or_b32 exec_lo, exec_lo, s4
.LBB0_5:                                ;   in Loop: Header=BB0_6 Depth=1
	s_add_co_i32 s20, s20, 0x10000
	s_delay_alu instid0(SALU_CYCLE_1)
	s_cmp_lt_u32 s20, s33
	s_cbranch_scc0 .LBB0_25
.LBB0_6:                                ; =>This Loop Header: Depth=1
                                        ;     Child Loop BB0_17 Depth 2
	s_wait_kmcnt 0x0
	s_mul_u64 s[16:17], s[8:9], s[20:21]
	s_and_not1_b32 vcc_lo, exec_lo, s26
	s_lshl_b64 s[16:17], s[16:17], 3
	s_mov_b32 s4, -1
	s_add_nc_u64 s[16:17], s[22:23], s[16:17]
	s_cbranch_vccz .LBB0_8
; %bb.7:                                ;   in Loop: Header=BB0_6 Depth=1
	s_and_not1_b32 vcc_lo, exec_lo, s4
	s_cbranch_vccnz .LBB0_5
	s_branch .LBB0_13
.LBB0_8:                                ;   in Loop: Header=BB0_6 Depth=1
	s_and_saveexec_b32 s4, s37
	s_cbranch_execz .LBB0_12
; %bb.9:                                ;   in Loop: Header=BB0_6 Depth=1
	v_dual_mov_b32 v12, 0 :: v_dual_mov_b32 v13, 0
	v_lshl_add_u64 v[10:11], v[4:5], 3, s[16:17]
	s_and_not1_b32 vcc_lo, exec_lo, s38
	s_cbranch_vccnz .LBB0_11
; %bb.10:                               ;   in Loop: Header=BB0_6 Depth=1
	global_load_b64 v[12:13], v[10:11], off
	v_mov_b64_e32 v[14:15], s[24:25]
	v_mov_b64_e32 v[18:19], s[30:31]
	s_wait_loadcnt 0x0
	s_delay_alu instid0(VALU_DEP_2) | instskip(NEXT) | instid1(VALU_DEP_1)
	v_pk_mul_f32 v[14:15], v[14:15], v[12:13] op_sel:[0,1]
	v_pk_fma_f32 v[20:21], v[18:19], v[12:13], v[14:15] op_sel_hi:[1,0,1]
	v_pk_fma_f32 v[12:13], v[18:19], v[12:13], v[14:15] neg_lo:[0,0,1] neg_hi:[0,0,1]
	s_delay_alu instid0(VALU_DEP_2)
	v_mov_b32_e32 v13, v21
.LBB0_11:                               ;   in Loop: Header=BB0_6 Depth=1
	global_store_b64 v[10:11], v[12:13], off
.LBB0_12:                               ;   in Loop: Header=BB0_6 Depth=1
	s_wait_xcnt 0x0
	s_or_b32 exec_lo, exec_lo, s4
	s_cbranch_execnz .LBB0_5
.LBB0_13:                               ;   in Loop: Header=BB0_6 Depth=1
	v_mov_b32_e32 v11, 0
	s_delay_alu instid0(VALU_DEP_1)
	v_mov_b32_e32 v10, v11
	s_and_saveexec_b32 s40, s0
	s_cbranch_execz .LBB0_21
; %bb.14:                               ;   in Loop: Header=BB0_6 Depth=1
	v_mad_nc_u64_u32 v[12:13], s12, s20, v[8:9]
	v_dual_mov_b32 v10, 0 :: v_dual_mov_b32 v18, v0
	s_mul_u64 s[18:19], s[10:11], s[20:21]
	s_mov_b32 s41, 0
	s_lshl_b64 s[18:19], s[18:19], 3
	s_delay_alu instid0(VALU_DEP_1) | instskip(SKIP_1) | instid1(VALU_DEP_3)
	v_mov_b32_e32 v11, v10
	s_add_nc_u64 s[18:19], s[6:7], s[18:19]
	v_mad_u32 v13, s13, s20, v13
	s_branch .LBB0_17
.LBB0_15:                               ;   in Loop: Header=BB0_17 Depth=2
	s_wait_xcnt 0x0
	s_or_b32 exec_lo, exec_lo, s43
	global_load_b64 v[20:21], v[12:13], off
	global_load_b32 v22, v[14:15], off
	s_wait_loadcnt 0x1
	s_wait_xcnt 0x0
	v_pk_mul_f32 v[14:15], v[2:3], v[20:21] op_sel:[0,1] op_sel_hi:[0,0]
	s_wait_loadcnt 0x0
	s_delay_alu instid0(VALU_DEP_1) | instskip(SKIP_1) | instid1(VALU_DEP_2)
	v_pk_fma_f32 v[24:25], v[22:23], v[20:21], v[14:15] op_sel_hi:[0,1,1]
	v_pk_fma_f32 v[14:15], v[22:23], v[20:21], v[14:15] neg_lo:[0,0,1] neg_hi:[0,0,1]
	v_mov_b32_e32 v15, v25
	s_delay_alu instid0(VALU_DEP_1)
	v_pk_add_f32 v[10:11], v[10:11], v[14:15]
.LBB0_16:                               ;   in Loop: Header=BB0_17 Depth=2
	s_or_b32 exec_lo, exec_lo, s42
	v_add_nc_u32_e32 v18, 16, v18
	s_delay_alu instid0(VALU_DEP_2) | instskip(NEXT) | instid1(VALU_DEP_2)
	v_add_nc_u64_e32 v[12:13], s[14:15], v[12:13]
	v_cmp_le_i32_e32 vcc_lo, s5, v18
	s_or_b32 s41, vcc_lo, s41
	s_delay_alu instid0(SALU_CYCLE_1)
	s_and_not1_b32 exec_lo, exec_lo, s41
	s_cbranch_execz .LBB0_20
.LBB0_17:                               ;   Parent Loop BB0_6 Depth=1
                                        ; =>  This Inner Loop Header: Depth=2
	s_and_saveexec_b32 s42, s1
	s_cbranch_execz .LBB0_16
; %bb.18:                               ;   in Loop: Header=BB0_17 Depth=2
	v_cmp_le_i32_e32 vcc_lo, v17, v18
	v_cmp_ge_i32_e64 s4, v17, v18
	s_or_b32 s43, s39, vcc_lo
	s_or_b32 s4, s2, s4
	s_delay_alu instid0(SALU_CYCLE_1) | instskip(SKIP_2) | instid1(VALU_DEP_1)
	s_and_b32 vcc_lo, s43, s4
	s_mov_b32 s43, exec_lo
	v_dual_cndmask_b32 v19, v18, v17 :: v_dual_cndmask_b32 v14, v17, v18
	v_dual_sub_nc_u32 v2, s36, v14 :: v_dual_add_nc_u32 v15, 1, v14
	s_delay_alu instid0(VALU_DEP_1) | instskip(NEXT) | instid1(VALU_DEP_1)
	v_dual_cndmask_b32 v20, v2, v15, s2 :: v_dual_ashrrev_i32 v15, 31, v14
	v_ashrrev_i32_e32 v21, 31, v20
	s_delay_alu instid0(VALU_DEP_1) | instskip(NEXT) | instid1(VALU_DEP_1)
	v_mul_u64_e32 v[20:21], v[20:21], v[14:15]
	v_lshrrev_b32_e32 v2, 31, v21
	s_delay_alu instid0(VALU_DEP_1) | instskip(SKIP_1) | instid1(VALU_DEP_1)
	v_add_nc_u64_e32 v[20:21], v[20:21], v[2:3]
	v_cndmask_b32_e64 v2, v14, 0, s2
	v_dual_sub_nc_u32 v14, v19, v2 :: v_dual_mov_b32 v2, 0
	s_delay_alu instid0(VALU_DEP_3) | instskip(NEXT) | instid1(VALU_DEP_1)
	v_lshlrev_b64_e32 v[20:21], 2, v[20:21]
	v_dual_ashrrev_i32 v15, 31, v14 :: v_dual_bitop2_b32 v20, -8, v20 bitop3:0x40
	s_delay_alu instid0(VALU_DEP_1) | instskip(NEXT) | instid1(VALU_DEP_1)
	v_add_nc_u64_e32 v[20:21], s[18:19], v[20:21]
	v_lshl_add_u64 v[14:15], v[14:15], 3, v[20:21]
	v_cmpx_ne_u32_e64 v17, v18
	s_cbranch_execz .LBB0_15
; %bb.19:                               ;   in Loop: Header=BB0_17 Depth=2
	global_load_b32 v2, v[14:15], off offset:4
	s_wait_loadcnt 0x0
	v_cndmask_b32_e64 v2, -v2, v2, vcc_lo
	s_branch .LBB0_15
.LBB0_20:                               ;   in Loop: Header=BB0_6 Depth=1
	s_or_b32 exec_lo, exec_lo, s41
.LBB0_21:                               ;   in Loop: Header=BB0_6 Depth=1
	s_delay_alu instid0(SALU_CYCLE_1)
	s_or_b32 exec_lo, exec_lo, s40
	ds_store_b64 v16, v[10:11]
	s_wait_storecnt_dscnt 0x0
	s_barrier_signal -1
	s_barrier_wait -1
	s_and_saveexec_b32 s4, s27
	s_cbranch_execz .LBB0_4
; %bb.22:                               ;   in Loop: Header=BB0_6 Depth=1
	ds_load_2addr_stride64_b64 v[10:13], v1 offset1:1
	ds_load_2addr_stride64_b64 v[18:21], v1 offset0:2 offset1:3
	ds_load_2addr_stride64_b64 v[22:25], v1 offset0:4 offset1:5
	s_wait_dscnt 0x2
	v_pk_add_f32 v[14:15], v[10:11], v[12:13]
	ds_load_2addr_stride64_b64 v[10:13], v1 offset0:6 offset1:7
	s_wait_dscnt 0x2
	v_pk_add_f32 v[14:15], v[14:15], v[18:19]
	s_delay_alu instid0(VALU_DEP_1) | instskip(SKIP_3) | instid1(VALU_DEP_1)
	v_pk_add_f32 v[14:15], v[14:15], v[20:21]
	ds_load_2addr_stride64_b64 v[18:21], v1 offset0:8 offset1:9
	s_wait_dscnt 0x2
	v_pk_add_f32 v[14:15], v[14:15], v[22:23]
	v_pk_add_f32 v[14:15], v[14:15], v[24:25]
	ds_load_2addr_stride64_b64 v[22:25], v1 offset0:10 offset1:11
	s_wait_dscnt 0x2
	v_pk_add_f32 v[10:11], v[14:15], v[10:11]
	s_delay_alu instid0(VALU_DEP_1) | instskip(SKIP_1) | instid1(VALU_DEP_1)
	v_pk_add_f32 v[10:11], v[10:11], v[12:13]
	s_wait_dscnt 0x1
	v_pk_add_f32 v[14:15], v[10:11], v[18:19]
	ds_load_2addr_stride64_b64 v[10:13], v1 offset0:12 offset1:13
	v_pk_add_f32 v[14:15], v[14:15], v[20:21]
	ds_load_2addr_stride64_b64 v[18:21], v1 offset0:14 offset1:15
	s_wait_dscnt 0x2
	v_pk_add_f32 v[22:23], v[14:15], v[22:23]
	ds_store_b64 v1, v[14:15]
	ds_store_b64 v1, v[22:23]
	v_pk_add_f32 v[24:25], v[22:23], v[24:25]
	s_wait_dscnt 0x3
	s_delay_alu instid0(VALU_DEP_1) | instskip(NEXT) | instid1(VALU_DEP_1)
	v_pk_add_f32 v[10:11], v[24:25], v[10:11]
	v_pk_add_f32 v[26:27], v[10:11], v[12:13]
	s_wait_dscnt 0x2
	s_delay_alu instid0(VALU_DEP_1) | instskip(NEXT) | instid1(VALU_DEP_1)
	v_pk_add_f32 v[18:19], v[26:27], v[18:19]
	v_pk_add_f32 v[12:13], v[18:19], v[20:21]
	ds_store_b64 v1, v[24:25]
	ds_store_b64 v1, v[10:11]
	;; [unrolled: 1-line block ×5, first 2 shown]
	s_and_b32 exec_lo, exec_lo, s3
	s_cbranch_execz .LBB0_4
; %bb.23:                               ;   in Loop: Header=BB0_6 Depth=1
	v_mov_b64_e32 v[10:11], s[34:35]
	v_mov_b64_e32 v[14:15], s[28:29]
	s_and_not1_b32 vcc_lo, exec_lo, s38
	s_delay_alu instid0(VALU_DEP_2) | instskip(NEXT) | instid1(VALU_DEP_1)
	v_pk_mul_f32 v[18:19], v[12:13], v[10:11] op_sel:[1,0]
	v_pk_fma_f32 v[10:11], v[12:13], v[14:15], v[18:19] op_sel_hi:[0,1,1] neg_lo:[0,0,1] neg_hi:[0,0,1]
	v_pk_fma_f32 v[14:15], v[12:13], v[14:15], v[18:19] op_sel_hi:[0,1,1]
	v_lshl_add_u64 v[12:13], v[6:7], 3, s[16:17]
	s_cbranch_vccnz .LBB0_3
; %bb.24:                               ;   in Loop: Header=BB0_6 Depth=1
	global_load_b64 v[18:19], v[12:13], off
	v_mov_b64_e32 v[20:21], s[24:25]
	v_mov_b64_e32 v[22:23], s[30:31]
	s_wait_loadcnt 0x0
	s_delay_alu instid0(VALU_DEP_2) | instskip(NEXT) | instid1(VALU_DEP_1)
	v_pk_mul_f32 v[20:21], v[20:21], v[18:19] op_sel:[0,1]
	v_pk_fma_f32 v[24:25], v[22:23], v[18:19], v[20:21] op_sel_hi:[1,0,1]
	v_mov_b32_e32 v11, v15
	v_pk_fma_f32 v[14:15], v[22:23], v[18:19], v[20:21] neg_lo:[0,0,1] neg_hi:[0,0,1]
	s_delay_alu instid0(VALU_DEP_3) | instskip(NEXT) | instid1(VALU_DEP_1)
	v_mov_b32_e32 v15, v25
	v_pk_add_f32 v[10:11], v[10:11], v[14:15]
	s_delay_alu instid0(VALU_DEP_1)
	v_mov_b32_e32 v15, v11
	s_branch .LBB0_3
.LBB0_25:
	s_endpgm
	.section	.rodata,"a",@progbits
	.p2align	6, 0x0
	.amdhsa_kernel _ZL19rocblas_hpmv_kernelILi64ELi16EPK19rocblas_complex_numIfES3_PS1_EvbiT1_T2_llS6_lllS5_T3_llli
		.amdhsa_group_segment_fixed_size 8192
		.amdhsa_private_segment_fixed_size 0
		.amdhsa_kernarg_size 116
		.amdhsa_user_sgpr_count 2
		.amdhsa_user_sgpr_dispatch_ptr 0
		.amdhsa_user_sgpr_queue_ptr 0
		.amdhsa_user_sgpr_kernarg_segment_ptr 1
		.amdhsa_user_sgpr_dispatch_id 0
		.amdhsa_user_sgpr_kernarg_preload_length 0
		.amdhsa_user_sgpr_kernarg_preload_offset 0
		.amdhsa_user_sgpr_private_segment_size 0
		.amdhsa_wavefront_size32 1
		.amdhsa_uses_dynamic_stack 0
		.amdhsa_enable_private_segment 0
		.amdhsa_system_sgpr_workgroup_id_x 1
		.amdhsa_system_sgpr_workgroup_id_y 0
		.amdhsa_system_sgpr_workgroup_id_z 1
		.amdhsa_system_sgpr_workgroup_info 0
		.amdhsa_system_vgpr_workitem_id 1
		.amdhsa_next_free_vgpr 28
		.amdhsa_next_free_sgpr 44
		.amdhsa_named_barrier_count 0
		.amdhsa_reserve_vcc 1
		.amdhsa_float_round_mode_32 0
		.amdhsa_float_round_mode_16_64 0
		.amdhsa_float_denorm_mode_32 3
		.amdhsa_float_denorm_mode_16_64 3
		.amdhsa_fp16_overflow 0
		.amdhsa_memory_ordered 1
		.amdhsa_forward_progress 1
		.amdhsa_inst_pref_size 13
		.amdhsa_round_robin_scheduling 0
		.amdhsa_exception_fp_ieee_invalid_op 0
		.amdhsa_exception_fp_denorm_src 0
		.amdhsa_exception_fp_ieee_div_zero 0
		.amdhsa_exception_fp_ieee_overflow 0
		.amdhsa_exception_fp_ieee_underflow 0
		.amdhsa_exception_fp_ieee_inexact 0
		.amdhsa_exception_int_div_zero 0
	.end_amdhsa_kernel
	.section	.text._ZL19rocblas_hpmv_kernelILi64ELi16EPK19rocblas_complex_numIfES3_PS1_EvbiT1_T2_llS6_lllS5_T3_llli,"axG",@progbits,_ZL19rocblas_hpmv_kernelILi64ELi16EPK19rocblas_complex_numIfES3_PS1_EvbiT1_T2_llS6_lllS5_T3_llli,comdat
.Lfunc_end0:
	.size	_ZL19rocblas_hpmv_kernelILi64ELi16EPK19rocblas_complex_numIfES3_PS1_EvbiT1_T2_llS6_lllS5_T3_llli, .Lfunc_end0-_ZL19rocblas_hpmv_kernelILi64ELi16EPK19rocblas_complex_numIfES3_PS1_EvbiT1_T2_llS6_lllS5_T3_llli
                                        ; -- End function
	.set _ZL19rocblas_hpmv_kernelILi64ELi16EPK19rocblas_complex_numIfES3_PS1_EvbiT1_T2_llS6_lllS5_T3_llli.num_vgpr, 28
	.set _ZL19rocblas_hpmv_kernelILi64ELi16EPK19rocblas_complex_numIfES3_PS1_EvbiT1_T2_llS6_lllS5_T3_llli.num_agpr, 0
	.set _ZL19rocblas_hpmv_kernelILi64ELi16EPK19rocblas_complex_numIfES3_PS1_EvbiT1_T2_llS6_lllS5_T3_llli.numbered_sgpr, 44
	.set _ZL19rocblas_hpmv_kernelILi64ELi16EPK19rocblas_complex_numIfES3_PS1_EvbiT1_T2_llS6_lllS5_T3_llli.num_named_barrier, 0
	.set _ZL19rocblas_hpmv_kernelILi64ELi16EPK19rocblas_complex_numIfES3_PS1_EvbiT1_T2_llS6_lllS5_T3_llli.private_seg_size, 0
	.set _ZL19rocblas_hpmv_kernelILi64ELi16EPK19rocblas_complex_numIfES3_PS1_EvbiT1_T2_llS6_lllS5_T3_llli.uses_vcc, 1
	.set _ZL19rocblas_hpmv_kernelILi64ELi16EPK19rocblas_complex_numIfES3_PS1_EvbiT1_T2_llS6_lllS5_T3_llli.uses_flat_scratch, 0
	.set _ZL19rocblas_hpmv_kernelILi64ELi16EPK19rocblas_complex_numIfES3_PS1_EvbiT1_T2_llS6_lllS5_T3_llli.has_dyn_sized_stack, 0
	.set _ZL19rocblas_hpmv_kernelILi64ELi16EPK19rocblas_complex_numIfES3_PS1_EvbiT1_T2_llS6_lllS5_T3_llli.has_recursion, 0
	.set _ZL19rocblas_hpmv_kernelILi64ELi16EPK19rocblas_complex_numIfES3_PS1_EvbiT1_T2_llS6_lllS5_T3_llli.has_indirect_call, 0
	.section	.AMDGPU.csdata,"",@progbits
; Kernel info:
; codeLenInByte = 1600
; TotalNumSgprs: 46
; NumVgprs: 28
; ScratchSize: 0
; MemoryBound: 0
; FloatMode: 240
; IeeeMode: 1
; LDSByteSize: 8192 bytes/workgroup (compile time only)
; SGPRBlocks: 0
; VGPRBlocks: 1
; NumSGPRsForWavesPerEU: 46
; NumVGPRsForWavesPerEU: 28
; NamedBarCnt: 0
; Occupancy: 16
; WaveLimiterHint : 0
; COMPUTE_PGM_RSRC2:SCRATCH_EN: 0
; COMPUTE_PGM_RSRC2:USER_SGPR: 2
; COMPUTE_PGM_RSRC2:TRAP_HANDLER: 0
; COMPUTE_PGM_RSRC2:TGID_X_EN: 1
; COMPUTE_PGM_RSRC2:TGID_Y_EN: 0
; COMPUTE_PGM_RSRC2:TGID_Z_EN: 1
; COMPUTE_PGM_RSRC2:TIDIG_COMP_CNT: 1
	.section	.text._ZL19rocblas_hpmv_kernelILi64ELi16E19rocblas_complex_numIfEPKS1_PS1_EvbiT1_T2_llS6_lllS5_T3_llli,"axG",@progbits,_ZL19rocblas_hpmv_kernelILi64ELi16E19rocblas_complex_numIfEPKS1_PS1_EvbiT1_T2_llS6_lllS5_T3_llli,comdat
	.globl	_ZL19rocblas_hpmv_kernelILi64ELi16E19rocblas_complex_numIfEPKS1_PS1_EvbiT1_T2_llS6_lllS5_T3_llli ; -- Begin function _ZL19rocblas_hpmv_kernelILi64ELi16E19rocblas_complex_numIfEPKS1_PS1_EvbiT1_T2_llS6_lllS5_T3_llli
	.p2align	8
	.type	_ZL19rocblas_hpmv_kernelILi64ELi16E19rocblas_complex_numIfEPKS1_PS1_EvbiT1_T2_llS6_lllS5_T3_llli,@function
_ZL19rocblas_hpmv_kernelILi64ELi16E19rocblas_complex_numIfEPKS1_PS1_EvbiT1_T2_llS6_lllS5_T3_llli: ; @_ZL19rocblas_hpmv_kernelILi64ELi16E19rocblas_complex_numIfEPKS1_PS1_EvbiT1_T2_llS6_lllS5_T3_llli
; %bb.0:
	s_clause 0x1
	s_load_b128 s[28:31], s[0:1], 0x0
	s_load_b64 s[34:35], s[0:1], 0x48
	s_wait_kmcnt 0x0
	s_cmp_eq_f32 s30, 0
	s_cselect_b32 s2, -1, 0
	s_cmp_eq_f32 s31, 0
	s_cselect_b32 s3, -1, 0
	s_delay_alu instid0(SALU_CYCLE_1) | instskip(SKIP_4) | instid1(SALU_CYCLE_1)
	s_and_b32 s2, s2, s3
	s_cmp_eq_f32 s34, 1.0
	s_cselect_b32 s3, -1, 0
	s_cmp_eq_f32 s35, 0
	s_cselect_b32 s4, -1, 0
	s_and_b32 s3, s3, s4
	s_delay_alu instid0(SALU_CYCLE_1) | instskip(NEXT) | instid1(SALU_CYCLE_1)
	s_and_b32 s2, s2, s3
	s_and_b32 vcc_lo, exec_lo, s2
	s_cbranch_vccnz .LBB1_25
; %bb.1:
	s_load_b32 s33, s[0:1], 0x70
	s_bfe_u32 s2, ttmp6, 0x40014
	s_lshr_b32 s4, ttmp7, 16
	s_add_co_i32 s2, s2, 1
	s_bfe_u32 s5, ttmp6, 0x40008
	s_mul_i32 s2, s4, s2
	s_getreg_b32 s3, hwreg(HW_REG_IB_STS2, 6, 4)
	s_add_co_i32 s5, s5, s2
	s_cmp_eq_u32 s3, 0
	s_cselect_b32 s36, s4, s5
	s_wait_kmcnt 0x0
	s_cmp_ge_u32 s36, s33
	s_cbranch_scc1 .LBB1_25
; %bb.2:
	s_clause 0x1
	s_load_b256 s[4:11], s[0:1], 0x10
	s_load_b256 s[12:19], s[0:1], 0x50
	v_bfe_u32 v6, v0, 10, 10
	v_and_b32_e32 v7, 0x3ff, v0
	s_load_b256 s[20:27], s[0:1], 0x30
	s_mov_b32 s42, s29
	s_mov_b32 s37, 0
	v_and_b32_e32 v11, 63, v0
	v_lshl_add_u32 v10, v6, 6, v7
	v_lshlrev_b32_e32 v12, 9, v6
	s_delay_alu instid0(VALU_DEP_2) | instskip(NEXT) | instid1(VALU_DEP_4)
	v_cmp_gt_u32_e32 vcc_lo, 64, v10
	v_and_or_b32 v13, 0x1ffc0, v10, v11
	s_delay_alu instid0(VALU_DEP_1)
	v_lshlrev_b32_e32 v16, 3, v13
	s_wait_kmcnt 0x0
	s_lshl_b64 s[38:39], s[6:7], 3
	s_lshl_b64 s[40:41], s[14:15], 3
	s_bitcmp1_b32 s28, 0
	s_mov_b32 s14, s31
	s_cselect_b32 s2, -1, 0
	s_bfe_u32 s6, ttmp6, 0x4000c
	s_and_b32 s7, ttmp6, 15
	s_add_co_i32 s6, s6, 1
	s_mov_b32 s15, s30
	s_mul_i32 s6, ttmp9, s6
	s_add_nc_u64 s[12:13], s[12:13], s[40:41]
	s_add_co_i32 s7, s7, s6
	s_cmp_eq_u32 s3, 0
	s_mov_b32 s6, s35
	s_cselect_b32 s3, ttmp9, s7
	s_or_b32 s0, s30, s31
	v_add_nc_u32_e32 v1, s3, v6
	s_and_b32 s1, s0, 0x7fffffff
	v_lshl_or_b32 v17, s3, 6, v11
	s_cmp_eq_u32 s1, 0
	s_mov_b32 s7, s34
	v_lshl_add_u32 v2, v1, 6, v7
	s_cselect_b32 s26, -1, 0
	s_cmp_neq_f32 s34, 0
	v_cmp_gt_i32_e64 s1, s29, v17
	s_delay_alu instid0(VALU_DEP_2) | instskip(SKIP_1) | instid1(VALU_DEP_2)
	v_ashrrev_i32_e32 v3, 31, v2
	v_cmp_gt_i32_e64 s3, s29, v2
	v_mul_u64_e32 v[4:5], s[16:17], v[2:3]
	v_dual_mov_b32 v3, 0 :: v_dual_lshrrev_b32 v0, 6, v10
	s_delay_alu instid0(VALU_DEP_1) | instskip(NEXT) | instid1(VALU_DEP_2)
	v_mov_b32_e32 v1, v3
	v_cmp_gt_i32_e64 s0, s29, v0
	s_delay_alu instid0(VALU_DEP_2)
	v_mul_u64_e32 v[8:9], s[22:23], v[0:1]
	v_lshlrev_b32_e32 v1, 3, v7
	v_mul_u64_e32 v[6:7], s[16:17], v[2:3]
	s_add_nc_u64 s[16:17], s[4:5], s[38:39]
	s_cselect_b32 s4, -1, 0
	s_cmp_neq_f32 s35, 0
	v_add_nc_u32_e32 v1, v1, v12
	s_cselect_b32 s38, -1, 0
	s_and_b32 s5, vcc_lo, s1
	s_ashr_i32 s43, s29, 31
	s_lshl_b64 s[20:21], s[20:21], 3
	s_and_b32 s28, s5, s3
	s_add_nc_u64 s[10:11], s[10:11], s[20:21]
	v_cmp_gt_i64_e64 s3, s[42:43], v[2:3]
	s_lshl_b32 s27, s29, 1
	s_or_b32 s38, s4, s38
	s_or_b32 s27, s27, 1
	s_lshl_b64 s[20:21], s[22:23], 7
	s_xor_b32 s39, s2, -1
	v_lshl_add_u64 v[8:9], v[8:9], 3, s[10:11]
	s_lshl_b64 s[10:11], s[24:25], 3
	s_branch .LBB1_6
.LBB1_3:                                ;   in Loop: Header=BB1_6 Depth=1
	s_delay_alu instid0(VALU_DEP_1)
	v_mov_b32_e32 v11, v15
	global_store_b64 v[12:13], v[10:11], off
.LBB1_4:                                ;   in Loop: Header=BB1_6 Depth=1
	s_wait_xcnt 0x0
	s_or_b32 exec_lo, exec_lo, s4
.LBB1_5:                                ;   in Loop: Header=BB1_6 Depth=1
	s_add_co_i32 s36, s36, 0x10000
	s_delay_alu instid0(SALU_CYCLE_1)
	s_cmp_lt_u32 s36, s33
	s_cbranch_scc0 .LBB1_25
.LBB1_6:                                ; =>This Loop Header: Depth=1
                                        ;     Child Loop BB1_17 Depth 2
	s_mul_u64 s[22:23], s[18:19], s[36:37]
	s_and_not1_b32 vcc_lo, exec_lo, s26
	s_lshl_b64 s[22:23], s[22:23], 3
	s_mov_b32 s4, -1
	s_add_nc_u64 s[22:23], s[12:13], s[22:23]
	s_cbranch_vccz .LBB1_8
; %bb.7:                                ;   in Loop: Header=BB1_6 Depth=1
	s_and_not1_b32 vcc_lo, exec_lo, s4
	s_cbranch_vccnz .LBB1_5
	s_branch .LBB1_13
.LBB1_8:                                ;   in Loop: Header=BB1_6 Depth=1
	s_and_saveexec_b32 s4, s28
	s_cbranch_execz .LBB1_12
; %bb.9:                                ;   in Loop: Header=BB1_6 Depth=1
	v_dual_mov_b32 v12, 0 :: v_dual_mov_b32 v13, 0
	v_lshl_add_u64 v[10:11], v[4:5], 3, s[22:23]
	s_and_not1_b32 vcc_lo, exec_lo, s38
	s_cbranch_vccnz .LBB1_11
; %bb.10:                               ;   in Loop: Header=BB1_6 Depth=1
	global_load_b64 v[12:13], v[10:11], off
	v_mov_b64_e32 v[14:15], s[6:7]
	v_mov_b64_e32 v[18:19], s[34:35]
	s_wait_loadcnt 0x0
	s_delay_alu instid0(VALU_DEP_2) | instskip(NEXT) | instid1(VALU_DEP_1)
	v_pk_mul_f32 v[14:15], v[14:15], v[12:13] op_sel:[0,1]
	v_pk_fma_f32 v[20:21], v[18:19], v[12:13], v[14:15] op_sel_hi:[1,0,1]
	v_pk_fma_f32 v[12:13], v[18:19], v[12:13], v[14:15] neg_lo:[0,0,1] neg_hi:[0,0,1]
	s_delay_alu instid0(VALU_DEP_2)
	v_mov_b32_e32 v13, v21
.LBB1_11:                               ;   in Loop: Header=BB1_6 Depth=1
	global_store_b64 v[10:11], v[12:13], off
.LBB1_12:                               ;   in Loop: Header=BB1_6 Depth=1
	s_wait_xcnt 0x0
	s_or_b32 exec_lo, exec_lo, s4
	s_cbranch_execnz .LBB1_5
.LBB1_13:                               ;   in Loop: Header=BB1_6 Depth=1
	v_mov_b32_e32 v11, 0
	s_delay_alu instid0(VALU_DEP_1)
	v_mov_b32_e32 v10, v11
	s_and_saveexec_b32 s40, s0
	s_cbranch_execz .LBB1_21
; %bb.14:                               ;   in Loop: Header=BB1_6 Depth=1
	v_mad_nc_u64_u32 v[12:13], s10, s36, v[8:9]
	v_dual_mov_b32 v10, 0 :: v_dual_mov_b32 v18, v0
	s_mul_u64 s[24:25], s[8:9], s[36:37]
	s_mov_b32 s41, 0
	s_lshl_b64 s[24:25], s[24:25], 3
	s_delay_alu instid0(VALU_DEP_1) | instskip(SKIP_1) | instid1(VALU_DEP_3)
	v_mov_b32_e32 v11, v10
	s_add_nc_u64 s[24:25], s[16:17], s[24:25]
	v_mad_u32 v13, s11, s36, v13
	s_branch .LBB1_17
.LBB1_15:                               ;   in Loop: Header=BB1_17 Depth=2
	s_wait_xcnt 0x0
	s_or_b32 exec_lo, exec_lo, s43
	global_load_b64 v[20:21], v[12:13], off
	global_load_b32 v22, v[14:15], off
	s_wait_loadcnt 0x1
	s_wait_xcnt 0x0
	v_pk_mul_f32 v[14:15], v[2:3], v[20:21] op_sel:[0,1] op_sel_hi:[0,0]
	s_wait_loadcnt 0x0
	s_delay_alu instid0(VALU_DEP_1) | instskip(SKIP_1) | instid1(VALU_DEP_2)
	v_pk_fma_f32 v[24:25], v[22:23], v[20:21], v[14:15] op_sel_hi:[0,1,1]
	v_pk_fma_f32 v[14:15], v[22:23], v[20:21], v[14:15] neg_lo:[0,0,1] neg_hi:[0,0,1]
	v_mov_b32_e32 v15, v25
	s_delay_alu instid0(VALU_DEP_1)
	v_pk_add_f32 v[10:11], v[10:11], v[14:15]
.LBB1_16:                               ;   in Loop: Header=BB1_17 Depth=2
	s_or_b32 exec_lo, exec_lo, s42
	v_add_nc_u32_e32 v18, 16, v18
	s_delay_alu instid0(VALU_DEP_2) | instskip(NEXT) | instid1(VALU_DEP_2)
	v_add_nc_u64_e32 v[12:13], s[20:21], v[12:13]
	v_cmp_le_i32_e32 vcc_lo, s29, v18
	s_or_b32 s41, vcc_lo, s41
	s_delay_alu instid0(SALU_CYCLE_1)
	s_and_not1_b32 exec_lo, exec_lo, s41
	s_cbranch_execz .LBB1_20
.LBB1_17:                               ;   Parent Loop BB1_6 Depth=1
                                        ; =>  This Inner Loop Header: Depth=2
	s_and_saveexec_b32 s42, s1
	s_cbranch_execz .LBB1_16
; %bb.18:                               ;   in Loop: Header=BB1_17 Depth=2
	v_cmp_le_i32_e32 vcc_lo, v17, v18
	v_cmp_ge_i32_e64 s4, v17, v18
	s_or_b32 s43, s39, vcc_lo
	s_or_b32 s4, s2, s4
	s_delay_alu instid0(SALU_CYCLE_1) | instskip(SKIP_2) | instid1(VALU_DEP_1)
	s_and_b32 vcc_lo, s43, s4
	s_mov_b32 s43, exec_lo
	v_dual_cndmask_b32 v19, v18, v17 :: v_dual_cndmask_b32 v14, v17, v18
	v_dual_sub_nc_u32 v2, s27, v14 :: v_dual_add_nc_u32 v15, 1, v14
	s_delay_alu instid0(VALU_DEP_1) | instskip(NEXT) | instid1(VALU_DEP_1)
	v_dual_cndmask_b32 v20, v2, v15, s2 :: v_dual_ashrrev_i32 v15, 31, v14
	v_ashrrev_i32_e32 v21, 31, v20
	s_delay_alu instid0(VALU_DEP_1) | instskip(NEXT) | instid1(VALU_DEP_1)
	v_mul_u64_e32 v[20:21], v[20:21], v[14:15]
	v_lshrrev_b32_e32 v2, 31, v21
	s_delay_alu instid0(VALU_DEP_1) | instskip(SKIP_1) | instid1(VALU_DEP_1)
	v_add_nc_u64_e32 v[20:21], v[20:21], v[2:3]
	v_cndmask_b32_e64 v2, v14, 0, s2
	v_dual_sub_nc_u32 v14, v19, v2 :: v_dual_mov_b32 v2, 0
	s_delay_alu instid0(VALU_DEP_3) | instskip(NEXT) | instid1(VALU_DEP_1)
	v_lshlrev_b64_e32 v[20:21], 2, v[20:21]
	v_dual_ashrrev_i32 v15, 31, v14 :: v_dual_bitop2_b32 v20, -8, v20 bitop3:0x40
	s_delay_alu instid0(VALU_DEP_1) | instskip(NEXT) | instid1(VALU_DEP_1)
	v_add_nc_u64_e32 v[20:21], s[24:25], v[20:21]
	v_lshl_add_u64 v[14:15], v[14:15], 3, v[20:21]
	v_cmpx_ne_u32_e64 v17, v18
	s_cbranch_execz .LBB1_15
; %bb.19:                               ;   in Loop: Header=BB1_17 Depth=2
	global_load_b32 v2, v[14:15], off offset:4
	s_wait_loadcnt 0x0
	v_cndmask_b32_e64 v2, -v2, v2, vcc_lo
	s_branch .LBB1_15
.LBB1_20:                               ;   in Loop: Header=BB1_6 Depth=1
	s_or_b32 exec_lo, exec_lo, s41
.LBB1_21:                               ;   in Loop: Header=BB1_6 Depth=1
	s_delay_alu instid0(SALU_CYCLE_1)
	s_or_b32 exec_lo, exec_lo, s40
	ds_store_b64 v16, v[10:11]
	s_wait_storecnt_dscnt 0x0
	s_barrier_signal -1
	s_barrier_wait -1
	s_and_saveexec_b32 s4, s5
	s_cbranch_execz .LBB1_4
; %bb.22:                               ;   in Loop: Header=BB1_6 Depth=1
	ds_load_2addr_stride64_b64 v[10:13], v1 offset1:1
	ds_load_2addr_stride64_b64 v[18:21], v1 offset0:2 offset1:3
	ds_load_2addr_stride64_b64 v[22:25], v1 offset0:4 offset1:5
	s_wait_dscnt 0x2
	v_pk_add_f32 v[14:15], v[10:11], v[12:13]
	ds_load_2addr_stride64_b64 v[10:13], v1 offset0:6 offset1:7
	s_wait_dscnt 0x2
	v_pk_add_f32 v[14:15], v[14:15], v[18:19]
	s_delay_alu instid0(VALU_DEP_1) | instskip(SKIP_3) | instid1(VALU_DEP_1)
	v_pk_add_f32 v[14:15], v[14:15], v[20:21]
	ds_load_2addr_stride64_b64 v[18:21], v1 offset0:8 offset1:9
	s_wait_dscnt 0x2
	v_pk_add_f32 v[14:15], v[14:15], v[22:23]
	v_pk_add_f32 v[14:15], v[14:15], v[24:25]
	ds_load_2addr_stride64_b64 v[22:25], v1 offset0:10 offset1:11
	s_wait_dscnt 0x2
	v_pk_add_f32 v[10:11], v[14:15], v[10:11]
	s_delay_alu instid0(VALU_DEP_1) | instskip(SKIP_1) | instid1(VALU_DEP_1)
	v_pk_add_f32 v[10:11], v[10:11], v[12:13]
	s_wait_dscnt 0x1
	v_pk_add_f32 v[14:15], v[10:11], v[18:19]
	ds_load_2addr_stride64_b64 v[10:13], v1 offset0:12 offset1:13
	v_pk_add_f32 v[14:15], v[14:15], v[20:21]
	ds_load_2addr_stride64_b64 v[18:21], v1 offset0:14 offset1:15
	s_wait_dscnt 0x2
	v_pk_add_f32 v[22:23], v[14:15], v[22:23]
	ds_store_b64 v1, v[14:15]
	ds_store_b64 v1, v[22:23]
	v_pk_add_f32 v[24:25], v[22:23], v[24:25]
	s_wait_dscnt 0x3
	s_delay_alu instid0(VALU_DEP_1) | instskip(NEXT) | instid1(VALU_DEP_1)
	v_pk_add_f32 v[10:11], v[24:25], v[10:11]
	v_pk_add_f32 v[26:27], v[10:11], v[12:13]
	s_wait_dscnt 0x2
	s_delay_alu instid0(VALU_DEP_1) | instskip(NEXT) | instid1(VALU_DEP_1)
	v_pk_add_f32 v[18:19], v[26:27], v[18:19]
	v_pk_add_f32 v[12:13], v[18:19], v[20:21]
	ds_store_b64 v1, v[24:25]
	ds_store_b64 v1, v[10:11]
	;; [unrolled: 1-line block ×5, first 2 shown]
	s_and_b32 exec_lo, exec_lo, s3
	s_cbranch_execz .LBB1_4
; %bb.23:                               ;   in Loop: Header=BB1_6 Depth=1
	v_mov_b64_e32 v[10:11], s[14:15]
	v_mov_b64_e32 v[14:15], s[30:31]
	s_and_not1_b32 vcc_lo, exec_lo, s38
	s_delay_alu instid0(VALU_DEP_2) | instskip(NEXT) | instid1(VALU_DEP_1)
	v_pk_mul_f32 v[18:19], v[12:13], v[10:11] op_sel:[1,0]
	v_pk_fma_f32 v[10:11], v[12:13], v[14:15], v[18:19] op_sel_hi:[0,1,1] neg_lo:[0,0,1] neg_hi:[0,0,1]
	v_pk_fma_f32 v[14:15], v[12:13], v[14:15], v[18:19] op_sel_hi:[0,1,1]
	v_lshl_add_u64 v[12:13], v[6:7], 3, s[22:23]
	s_cbranch_vccnz .LBB1_3
; %bb.24:                               ;   in Loop: Header=BB1_6 Depth=1
	global_load_b64 v[18:19], v[12:13], off
	v_mov_b64_e32 v[20:21], s[6:7]
	v_mov_b64_e32 v[22:23], s[34:35]
	s_wait_loadcnt 0x0
	s_delay_alu instid0(VALU_DEP_2) | instskip(NEXT) | instid1(VALU_DEP_1)
	v_pk_mul_f32 v[20:21], v[20:21], v[18:19] op_sel:[0,1]
	v_pk_fma_f32 v[24:25], v[22:23], v[18:19], v[20:21] op_sel_hi:[1,0,1]
	v_mov_b32_e32 v11, v15
	v_pk_fma_f32 v[14:15], v[22:23], v[18:19], v[20:21] neg_lo:[0,0,1] neg_hi:[0,0,1]
	s_delay_alu instid0(VALU_DEP_3) | instskip(NEXT) | instid1(VALU_DEP_1)
	v_mov_b32_e32 v15, v25
	v_pk_add_f32 v[10:11], v[10:11], v[14:15]
	s_delay_alu instid0(VALU_DEP_1)
	v_mov_b32_e32 v15, v11
	s_branch .LBB1_3
.LBB1_25:
	s_endpgm
	.section	.rodata,"a",@progbits
	.p2align	6, 0x0
	.amdhsa_kernel _ZL19rocblas_hpmv_kernelILi64ELi16E19rocblas_complex_numIfEPKS1_PS1_EvbiT1_T2_llS6_lllS5_T3_llli
		.amdhsa_group_segment_fixed_size 8192
		.amdhsa_private_segment_fixed_size 0
		.amdhsa_kernarg_size 116
		.amdhsa_user_sgpr_count 2
		.amdhsa_user_sgpr_dispatch_ptr 0
		.amdhsa_user_sgpr_queue_ptr 0
		.amdhsa_user_sgpr_kernarg_segment_ptr 1
		.amdhsa_user_sgpr_dispatch_id 0
		.amdhsa_user_sgpr_kernarg_preload_length 0
		.amdhsa_user_sgpr_kernarg_preload_offset 0
		.amdhsa_user_sgpr_private_segment_size 0
		.amdhsa_wavefront_size32 1
		.amdhsa_uses_dynamic_stack 0
		.amdhsa_enable_private_segment 0
		.amdhsa_system_sgpr_workgroup_id_x 1
		.amdhsa_system_sgpr_workgroup_id_y 0
		.amdhsa_system_sgpr_workgroup_id_z 1
		.amdhsa_system_sgpr_workgroup_info 0
		.amdhsa_system_vgpr_workitem_id 1
		.amdhsa_next_free_vgpr 28
		.amdhsa_next_free_sgpr 44
		.amdhsa_named_barrier_count 0
		.amdhsa_reserve_vcc 1
		.amdhsa_float_round_mode_32 0
		.amdhsa_float_round_mode_16_64 0
		.amdhsa_float_denorm_mode_32 3
		.amdhsa_float_denorm_mode_16_64 3
		.amdhsa_fp16_overflow 0
		.amdhsa_memory_ordered 1
		.amdhsa_forward_progress 1
		.amdhsa_inst_pref_size 13
		.amdhsa_round_robin_scheduling 0
		.amdhsa_exception_fp_ieee_invalid_op 0
		.amdhsa_exception_fp_denorm_src 0
		.amdhsa_exception_fp_ieee_div_zero 0
		.amdhsa_exception_fp_ieee_overflow 0
		.amdhsa_exception_fp_ieee_underflow 0
		.amdhsa_exception_fp_ieee_inexact 0
		.amdhsa_exception_int_div_zero 0
	.end_amdhsa_kernel
	.section	.text._ZL19rocblas_hpmv_kernelILi64ELi16E19rocblas_complex_numIfEPKS1_PS1_EvbiT1_T2_llS6_lllS5_T3_llli,"axG",@progbits,_ZL19rocblas_hpmv_kernelILi64ELi16E19rocblas_complex_numIfEPKS1_PS1_EvbiT1_T2_llS6_lllS5_T3_llli,comdat
.Lfunc_end1:
	.size	_ZL19rocblas_hpmv_kernelILi64ELi16E19rocblas_complex_numIfEPKS1_PS1_EvbiT1_T2_llS6_lllS5_T3_llli, .Lfunc_end1-_ZL19rocblas_hpmv_kernelILi64ELi16E19rocblas_complex_numIfEPKS1_PS1_EvbiT1_T2_llS6_lllS5_T3_llli
                                        ; -- End function
	.set _ZL19rocblas_hpmv_kernelILi64ELi16E19rocblas_complex_numIfEPKS1_PS1_EvbiT1_T2_llS6_lllS5_T3_llli.num_vgpr, 28
	.set _ZL19rocblas_hpmv_kernelILi64ELi16E19rocblas_complex_numIfEPKS1_PS1_EvbiT1_T2_llS6_lllS5_T3_llli.num_agpr, 0
	.set _ZL19rocblas_hpmv_kernelILi64ELi16E19rocblas_complex_numIfEPKS1_PS1_EvbiT1_T2_llS6_lllS5_T3_llli.numbered_sgpr, 44
	.set _ZL19rocblas_hpmv_kernelILi64ELi16E19rocblas_complex_numIfEPKS1_PS1_EvbiT1_T2_llS6_lllS5_T3_llli.num_named_barrier, 0
	.set _ZL19rocblas_hpmv_kernelILi64ELi16E19rocblas_complex_numIfEPKS1_PS1_EvbiT1_T2_llS6_lllS5_T3_llli.private_seg_size, 0
	.set _ZL19rocblas_hpmv_kernelILi64ELi16E19rocblas_complex_numIfEPKS1_PS1_EvbiT1_T2_llS6_lllS5_T3_llli.uses_vcc, 1
	.set _ZL19rocblas_hpmv_kernelILi64ELi16E19rocblas_complex_numIfEPKS1_PS1_EvbiT1_T2_llS6_lllS5_T3_llli.uses_flat_scratch, 0
	.set _ZL19rocblas_hpmv_kernelILi64ELi16E19rocblas_complex_numIfEPKS1_PS1_EvbiT1_T2_llS6_lllS5_T3_llli.has_dyn_sized_stack, 0
	.set _ZL19rocblas_hpmv_kernelILi64ELi16E19rocblas_complex_numIfEPKS1_PS1_EvbiT1_T2_llS6_lllS5_T3_llli.has_recursion, 0
	.set _ZL19rocblas_hpmv_kernelILi64ELi16E19rocblas_complex_numIfEPKS1_PS1_EvbiT1_T2_llS6_lllS5_T3_llli.has_indirect_call, 0
	.section	.AMDGPU.csdata,"",@progbits
; Kernel info:
; codeLenInByte = 1584
; TotalNumSgprs: 46
; NumVgprs: 28
; ScratchSize: 0
; MemoryBound: 0
; FloatMode: 240
; IeeeMode: 1
; LDSByteSize: 8192 bytes/workgroup (compile time only)
; SGPRBlocks: 0
; VGPRBlocks: 1
; NumSGPRsForWavesPerEU: 46
; NumVGPRsForWavesPerEU: 28
; NamedBarCnt: 0
; Occupancy: 16
; WaveLimiterHint : 1
; COMPUTE_PGM_RSRC2:SCRATCH_EN: 0
; COMPUTE_PGM_RSRC2:USER_SGPR: 2
; COMPUTE_PGM_RSRC2:TRAP_HANDLER: 0
; COMPUTE_PGM_RSRC2:TGID_X_EN: 1
; COMPUTE_PGM_RSRC2:TGID_Y_EN: 0
; COMPUTE_PGM_RSRC2:TGID_Z_EN: 1
; COMPUTE_PGM_RSRC2:TIDIG_COMP_CNT: 1
	.section	.text._ZL19rocblas_hpmv_kernelILi64ELi16EPK19rocblas_complex_numIdES3_PS1_EvbiT1_T2_llS6_lllS5_T3_llli,"axG",@progbits,_ZL19rocblas_hpmv_kernelILi64ELi16EPK19rocblas_complex_numIdES3_PS1_EvbiT1_T2_llS6_lllS5_T3_llli,comdat
	.globl	_ZL19rocblas_hpmv_kernelILi64ELi16EPK19rocblas_complex_numIdES3_PS1_EvbiT1_T2_llS6_lllS5_T3_llli ; -- Begin function _ZL19rocblas_hpmv_kernelILi64ELi16EPK19rocblas_complex_numIdES3_PS1_EvbiT1_T2_llS6_lllS5_T3_llli
	.p2align	8
	.type	_ZL19rocblas_hpmv_kernelILi64ELi16EPK19rocblas_complex_numIdES3_PS1_EvbiT1_T2_llS6_lllS5_T3_llli,@function
_ZL19rocblas_hpmv_kernelILi64ELi16EPK19rocblas_complex_numIdES3_PS1_EvbiT1_T2_llS6_lllS5_T3_llli: ; @_ZL19rocblas_hpmv_kernelILi64ELi16EPK19rocblas_complex_numIdES3_PS1_EvbiT1_T2_llS6_lllS5_T3_llli
; %bb.0:
	s_load_b512 s[4:19], s[0:1], 0x8
	s_wait_kmcnt 0x0
	s_load_b128 s[28:31], s[4:5], 0x0
	s_load_b256 s[20:27], s[0:1], 0x48
	s_wait_kmcnt 0x0
	v_cmp_neq_f64_e64 s2, s[28:29], 0
	v_cmp_neq_f64_e64 s3, s[30:31], 0
	s_load_b128 s[36:39], s[20:21], 0x0
	s_or_b32 s2, s2, s3
	s_mov_b32 s3, -1
	s_and_b32 vcc_lo, exec_lo, s2
	s_cbranch_vccnz .LBB2_2
; %bb.1:
	s_wait_kmcnt 0x0
	v_cmp_neq_f64_e64 s3, s[36:37], 1.0
	v_cmp_neq_f64_e64 s4, s[38:39], 0
	s_or_b32 s3, s3, s4
.LBB2_2:
	s_delay_alu instid0(SALU_CYCLE_1)
	s_and_not1_b32 vcc_lo, exec_lo, s3
	s_cbranch_vccnz .LBB2_30
; %bb.3:
	s_load_b32 s33, s[0:1], 0x70
	s_bfe_u32 s3, ttmp6, 0x40014
	s_lshr_b32 s4, ttmp7, 16
	s_add_co_i32 s3, s3, 1
	s_wait_xcnt 0x0
	s_bfe_u32 s20, ttmp6, 0x40008
	s_mul_i32 s5, s4, s3
	s_getreg_b32 s3, hwreg(HW_REG_IB_STS2, 6, 4)
	s_add_co_i32 s20, s20, s5
	s_cmp_eq_u32 s3, 0
	s_mov_b32 s21, 0
	s_cselect_b32 s20, s4, s20
	s_wait_kmcnt 0x0
	s_cmp_ge_u32 s20, s33
	s_cbranch_scc1 .LBB2_30
; %bb.4:
	s_load_b64 s[4:5], s[0:1], 0x0
	s_xor_b32 s34, s2, -1
	s_lshl_b64 s[40:41], s[8:9], 4
	s_lshl_b64 s[24:25], s[24:25], 4
	v_bfe_u32 v1, v0, 10, 10
	v_and_b32_e32 v4, 0x3ff, v0
	v_cmp_neq_f64_e64 s35, s[38:39], 0
	s_add_nc_u64 s[6:7], s[6:7], s[40:41]
	s_add_nc_u64 s[22:23], s[22:23], s[24:25]
	v_and_b32_e32 v0, 63, v0
	v_lshl_add_u32 v5, v1, 6, v4
	s_delay_alu instid0(VALU_DEP_1) | instskip(SKIP_1) | instid1(VALU_DEP_4)
	v_lshrrev_b32_e32 v12, 6, v5
	v_cmp_gt_u32_e32 vcc_lo, 64, v5
	v_and_or_b32 v6, 0x1ffc0, v5, v0
	s_wait_kmcnt 0x0
	s_bitcmp1_b32 s4, 0
	s_mov_b32 s40, s5
	s_cselect_b32 s2, -1, 0
	s_bfe_u32 s4, ttmp6, 0x4000c
	s_and_b32 s8, ttmp6, 15
	s_add_co_i32 s4, s4, 1
	v_lshlrev_b32_e32 v20, 4, v6
	s_mul_i32 s4, ttmp9, s4
	s_delay_alu instid0(SALU_CYCLE_1)
	s_add_co_i32 s8, s8, s4
	s_cmp_eq_u32 s3, 0
	v_cmp_neq_f64_e64 s4, s[36:37], 0
	s_cselect_b32 s3, ttmp9, s8
	s_load_b64 s[8:9], s[0:1], 0x68
	v_add_nc_u32_e32 v2, s3, v1
	v_lshl_or_b32 v21, s3, 6, v0
	v_lshlrev_b32_e32 v1, 10, v1
	s_lshl_b64 s[14:15], s[14:15], 4
	s_ashr_i32 s41, s5, 31
	v_lshl_add_u32 v8, v2, 6, v4
	v_lshlrev_b32_e32 v4, 4, v4
	s_wait_xcnt 0x0
	v_cmp_gt_i32_e64 s1, s5, v21
	s_add_nc_u64 s[12:13], s[12:13], s[14:15]
	v_cmp_gt_i32_e64 s0, s5, v12
	v_ashrrev_i32_e32 v9, 31, v8
	v_cmp_gt_i32_e64 s3, s5, v8
	s_lshl_b32 s25, s5, 1
	s_lshl_b64 s[14:15], s[16:17], 8
	s_or_b32 s25, s25, 1
	v_mul_u64_e32 v[10:11], s[26:27], v[8:9]
	v_mov_b32_e32 v9, 0
	s_and_b32 s24, vcc_lo, s1
	s_delay_alu instid0(VALU_DEP_1) | instskip(SKIP_3) | instid1(VALU_DEP_3)
	v_mov_b32_e32 v13, v9
	v_mul_u64_e32 v[14:15], s[26:27], v[8:9]
	s_and_b32 s26, s24, s3
	v_cmp_gt_i64_e64 s3, s[40:41], v[8:9]
	v_mul_u64_e32 v[2:3], s[16:17], v[12:13]
	v_add_nc_u32_e32 v13, v4, v1
	s_or_b32 s27, s4, s35
	s_xor_b32 s35, s2, -1
	s_delay_alu instid0(VALU_DEP_2) | instskip(SKIP_1) | instid1(VALU_DEP_1)
	v_lshl_add_u64 v[0:1], v[2:3], 4, s[12:13]
	s_lshl_b64 s[12:13], s[18:19], 4
	v_add_nc_u64_e32 v[16:17], 8, v[0:1]
	s_branch .LBB2_6
.LBB2_5:                                ;   in Loop: Header=BB2_6 Depth=1
	s_wait_xcnt 0x0
	s_or_b32 exec_lo, exec_lo, s4
	s_add_co_i32 s20, s20, 0x10000
	s_delay_alu instid0(SALU_CYCLE_1)
	s_cmp_lt_u32 s20, s33
	s_cbranch_scc0 .LBB2_30
.LBB2_6:                                ; =>This Loop Header: Depth=1
                                        ;     Child Loop BB2_17 Depth 2
	s_wait_kmcnt 0x0
	s_mul_u64 s[16:17], s[8:9], s[20:21]
	s_mov_b32 s40, 0
	s_lshl_b64 s[16:17], s[16:17], 4
	s_and_not1_b32 vcc_lo, exec_lo, s34
	s_add_nc_u64 s[16:17], s[22:23], s[16:17]
	s_mov_b32 s4, -1
                                        ; implicit-def: $vgpr2_vgpr3
	s_cbranch_vccnz .LBB2_12
; %bb.7:                                ;   in Loop: Header=BB2_6 Depth=1
	s_mov_b32 s4, 0
                                        ; implicit-def: $vgpr2_vgpr3
	s_and_saveexec_b32 s18, s26
	s_cbranch_execz .LBB2_11
; %bb.8:                                ;   in Loop: Header=BB2_6 Depth=1
	v_mov_b64_e32 v[2:3], 0
	v_mov_b64_e32 v[0:1], 0
	s_and_not1_b32 vcc_lo, exec_lo, s27
	s_cbranch_vccnz .LBB2_10
; %bb.9:                                ;   in Loop: Header=BB2_6 Depth=1
	v_lshl_add_u64 v[0:1], v[10:11], 4, s[16:17]
	global_load_b128 v[4:7], v[0:1], off
	s_wait_loadcnt 0x0
	s_wait_xcnt 0x0
	v_mul_f64_e32 v[0:1], s[38:39], v[6:7]
	v_mul_f64_e32 v[2:3], s[36:37], v[6:7]
	s_delay_alu instid0(VALU_DEP_2) | instskip(NEXT) | instid1(VALU_DEP_2)
	v_fma_f64 v[0:1], s[36:37], v[4:5], -v[0:1]
	v_fmac_f64_e32 v[2:3], s[38:39], v[4:5]
.LBB2_10:                               ;   in Loop: Header=BB2_6 Depth=1
	s_mov_b32 s40, exec_lo
.LBB2_11:                               ;   in Loop: Header=BB2_6 Depth=1
	s_or_b32 exec_lo, exec_lo, s18
.LBB2_12:                               ;   in Loop: Header=BB2_6 Depth=1
	s_delay_alu instid0(SALU_CYCLE_1)
	s_and_b32 vcc_lo, exec_lo, s4
	s_cbranch_vccz .LBB2_20
; %bb.13:                               ;   in Loop: Header=BB2_6 Depth=1
	v_mov_b64_e32 v[2:3], 0
	v_mov_b64_e32 v[0:1], 0
	s_and_saveexec_b32 s41, s0
	s_cbranch_execz .LBB2_22
; %bb.14:                               ;   in Loop: Header=BB2_6 Depth=1
	v_mad_nc_u64_u32 v[4:5], s12, s20, v[16:17]
	v_mov_b64_e32 v[2:3], 0
	s_mul_u64 s[18:19], s[10:11], s[20:21]
	v_mov_b32_e32 v22, v12
	s_lshl_b64 s[18:19], s[18:19], 4
	s_mov_b32 s42, 0
	s_add_nc_u64 s[18:19], s[6:7], s[18:19]
	s_delay_alu instid0(VALU_DEP_2) | instskip(NEXT) | instid1(VALU_DEP_4)
	v_mov_b64_e32 v[0:1], v[2:3]
	v_mad_u32 v5, s13, s20, v5
	s_branch .LBB2_17
.LBB2_15:                               ;   in Loop: Header=BB2_17 Depth=2
	s_wait_xcnt 0x0
	s_or_b32 exec_lo, exec_lo, s44
	global_load_b128 v[24:27], v[4:5], off offset:-8
	global_load_b64 v[28:29], v[18:19], off
	s_wait_loadcnt 0x1
	s_wait_xcnt 0x0
	v_mul_f64_e32 v[18:19], v[6:7], v[26:27]
	s_wait_loadcnt 0x0
	v_mul_f64_e32 v[26:27], v[28:29], v[26:27]
	s_delay_alu instid0(VALU_DEP_2) | instskip(NEXT) | instid1(VALU_DEP_2)
	v_fma_f64 v[18:19], v[28:29], v[24:25], -v[18:19]
	v_fmac_f64_e32 v[26:27], v[6:7], v[24:25]
	s_delay_alu instid0(VALU_DEP_2) | instskip(NEXT) | instid1(VALU_DEP_2)
	v_add_f64_e32 v[0:1], v[0:1], v[18:19]
	v_add_f64_e32 v[2:3], v[2:3], v[26:27]
.LBB2_16:                               ;   in Loop: Header=BB2_17 Depth=2
	s_or_b32 exec_lo, exec_lo, s43
	v_add_nc_u32_e32 v22, 16, v22
	s_delay_alu instid0(VALU_DEP_2) | instskip(NEXT) | instid1(VALU_DEP_2)
	v_add_nc_u64_e32 v[4:5], s[14:15], v[4:5]
	v_cmp_le_i32_e32 vcc_lo, s5, v22
	s_or_b32 s42, vcc_lo, s42
	s_delay_alu instid0(SALU_CYCLE_1)
	s_and_not1_b32 exec_lo, exec_lo, s42
	s_cbranch_execz .LBB2_21
.LBB2_17:                               ;   Parent Loop BB2_6 Depth=1
                                        ; =>  This Inner Loop Header: Depth=2
	s_and_saveexec_b32 s43, s1
	s_cbranch_execz .LBB2_16
; %bb.18:                               ;   in Loop: Header=BB2_17 Depth=2
	v_cmp_le_i32_e32 vcc_lo, v21, v22
	v_cmp_ge_i32_e64 s4, v21, v22
	s_or_b32 s44, s35, vcc_lo
	s_or_b32 s4, s2, s4
	s_delay_alu instid0(SALU_CYCLE_1) | instskip(SKIP_2) | instid1(VALU_DEP_1)
	s_and_b32 vcc_lo, s44, s4
	s_mov_b32 s44, exec_lo
	v_dual_cndmask_b32 v23, v22, v21 :: v_dual_cndmask_b32 v6, v21, v22
	v_dual_sub_nc_u32 v7, s25, v6 :: v_dual_add_nc_u32 v8, 1, v6
	s_delay_alu instid0(VALU_DEP_1) | instskip(NEXT) | instid1(VALU_DEP_1)
	v_dual_cndmask_b32 v18, v7, v8, s2 :: v_dual_ashrrev_i32 v7, 31, v6
	v_ashrrev_i32_e32 v19, 31, v18
	s_delay_alu instid0(VALU_DEP_1) | instskip(SKIP_1) | instid1(VALU_DEP_1)
	v_mul_u64_e32 v[18:19], v[18:19], v[6:7]
	v_cndmask_b32_e64 v6, v6, 0, s2
	v_sub_nc_u32_e32 v24, v23, v6
	v_mov_b64_e32 v[6:7], 0
	s_delay_alu instid0(VALU_DEP_2) | instskip(NEXT) | instid1(VALU_DEP_1)
	v_dual_ashrrev_i32 v25, 31, v24 :: v_dual_lshrrev_b32 v8, 31, v19
	v_add_nc_u64_e32 v[18:19], v[18:19], v[8:9]
	s_delay_alu instid0(VALU_DEP_1) | instskip(NEXT) | instid1(VALU_DEP_1)
	v_lshlrev_b64_e32 v[18:19], 3, v[18:19]
	v_and_b32_e32 v18, -16, v18
	s_delay_alu instid0(VALU_DEP_1) | instskip(NEXT) | instid1(VALU_DEP_1)
	v_add_nc_u64_e32 v[18:19], s[18:19], v[18:19]
	v_lshl_add_u64 v[18:19], v[24:25], 4, v[18:19]
	v_cmpx_ne_u32_e64 v21, v22
	s_cbranch_execz .LBB2_15
; %bb.19:                               ;   in Loop: Header=BB2_17 Depth=2
	global_load_b64 v[6:7], v[18:19], off offset:8
	s_wait_loadcnt 0x0
	v_xor_b32_e32 v8, 0x80000000, v7
	s_delay_alu instid0(VALU_DEP_1)
	v_cndmask_b32_e32 v7, v8, v7, vcc_lo
	s_branch .LBB2_15
.LBB2_20:                               ;   in Loop: Header=BB2_6 Depth=1
	v_mov_b64_e32 v[4:5], v[10:11]
	s_and_saveexec_b32 s4, s40
	s_cbranch_execz .LBB2_5
	s_branch .LBB2_29
.LBB2_21:                               ;   in Loop: Header=BB2_6 Depth=1
	s_or_b32 exec_lo, exec_lo, s42
.LBB2_22:                               ;   in Loop: Header=BB2_6 Depth=1
	s_delay_alu instid0(SALU_CYCLE_1)
	s_or_b32 exec_lo, exec_lo, s41
	ds_store_b128 v20, v[0:3]
	s_wait_dscnt 0x0
	s_barrier_signal -1
	s_barrier_wait -1
                                        ; implicit-def: $vgpr2_vgpr3
	s_and_saveexec_b32 s4, s24
	s_cbranch_execz .LBB2_28
; %bb.23:                               ;   in Loop: Header=BB2_6 Depth=1
	ds_load_b128 v[0:3], v13
	ds_load_b128 v[4:7], v13 offset:1024
	s_mov_b32 s19, s40
	s_wait_dscnt 0x0
	v_add_f64_e32 v[18:19], v[0:1], v[4:5]
	v_add_f64_e32 v[22:23], v[2:3], v[6:7]
	ds_load_b128 v[0:3], v13 offset:2048
	ds_load_b128 v[4:7], v13 offset:3072
	s_wait_dscnt 0x1
	v_add_f64_e32 v[0:1], v[18:19], v[0:1]
	v_add_f64_e32 v[2:3], v[22:23], v[2:3]
	s_wait_dscnt 0x0
	s_delay_alu instid0(VALU_DEP_2) | instskip(NEXT) | instid1(VALU_DEP_2)
	v_add_f64_e32 v[18:19], v[0:1], v[4:5]
	v_add_f64_e32 v[22:23], v[2:3], v[6:7]
	ds_load_b128 v[0:3], v13 offset:4096
	ds_load_b128 v[4:7], v13 offset:5120
	s_wait_dscnt 0x1
	v_add_f64_e32 v[0:1], v[18:19], v[0:1]
	v_add_f64_e32 v[2:3], v[22:23], v[2:3]
	s_wait_dscnt 0x0
	s_delay_alu instid0(VALU_DEP_2) | instskip(NEXT) | instid1(VALU_DEP_2)
	;; [unrolled: 9-line block ×4, first 2 shown]
	v_add_f64_e32 v[0:1], v[0:1], v[4:5]
	v_add_f64_e32 v[2:3], v[2:3], v[6:7]
	ds_load_b128 v[4:7], v13 offset:10240
	ds_load_b128 v[22:25], v13 offset:11264
	s_wait_dscnt 0x1
	v_add_f64_e32 v[26:27], v[0:1], v[4:5]
	v_add_f64_e32 v[28:29], v[2:3], v[6:7]
	ds_load_b128 v[4:7], v13 offset:12288
	ds_load_b128 v[30:33], v13 offset:13312
	s_wait_dscnt 0x2
	v_add_f64_e32 v[22:23], v[26:27], v[22:23]
	v_add_f64_e32 v[24:25], v[28:29], v[24:25]
	s_wait_dscnt 0x1
	s_delay_alu instid0(VALU_DEP_2) | instskip(NEXT) | instid1(VALU_DEP_2)
	v_add_f64_e32 v[34:35], v[22:23], v[4:5]
	v_add_f64_e32 v[36:37], v[24:25], v[6:7]
	ds_load_b128 v[4:7], v13 offset:14336
	ds_load_b128 v[38:41], v13 offset:15360
	s_wait_dscnt 0x2
	v_add_f64_e32 v[30:31], v[34:35], v[30:31]
	v_add_f64_e32 v[32:33], v[36:37], v[32:33]
	s_wait_dscnt 0x1
	s_delay_alu instid0(VALU_DEP_2) | instskip(NEXT) | instid1(VALU_DEP_2)
	v_add_f64_e32 v[42:43], v[30:31], v[4:5]
	v_add_f64_e32 v[44:45], v[32:33], v[6:7]
	ds_store_b128 v13, v[0:3]
	ds_store_b128 v13, v[26:29]
	;; [unrolled: 1-line block ×6, first 2 shown]
                                        ; implicit-def: $vgpr2_vgpr3
	s_wait_dscnt 0x6
	v_add_f64_e32 v[4:5], v[42:43], v[38:39]
	v_add_f64_e32 v[6:7], v[44:45], v[40:41]
	ds_store_b128 v13, v[4:7]
	s_and_saveexec_b32 s18, s3
	s_cbranch_execz .LBB2_27
; %bb.24:                               ;   in Loop: Header=BB2_6 Depth=1
	v_mul_f64_e32 v[0:1], s[30:31], v[6:7]
	v_mul_f64_e32 v[2:3], s[28:29], v[6:7]
	s_and_not1_b32 vcc_lo, exec_lo, s27
	s_delay_alu instid0(VALU_DEP_2) | instskip(NEXT) | instid1(VALU_DEP_2)
	v_fma_f64 v[0:1], s[28:29], v[4:5], -v[0:1]
	v_fmac_f64_e32 v[2:3], s[30:31], v[4:5]
	s_cbranch_vccnz .LBB2_26
; %bb.25:                               ;   in Loop: Header=BB2_6 Depth=1
	v_lshl_add_u64 v[4:5], v[14:15], 4, s[16:17]
	global_load_b128 v[4:7], v[4:5], off
	s_wait_loadcnt 0x0
	v_mul_f64_e32 v[18:19], s[38:39], v[6:7]
	v_mul_f64_e32 v[6:7], s[36:37], v[6:7]
	s_delay_alu instid0(VALU_DEP_2) | instskip(NEXT) | instid1(VALU_DEP_2)
	v_fma_f64 v[18:19], s[36:37], v[4:5], -v[18:19]
	v_fmac_f64_e32 v[6:7], s[38:39], v[4:5]
	s_delay_alu instid0(VALU_DEP_2) | instskip(NEXT) | instid1(VALU_DEP_2)
	v_add_f64_e32 v[0:1], v[0:1], v[18:19]
	v_add_f64_e32 v[2:3], v[2:3], v[6:7]
.LBB2_26:                               ;   in Loop: Header=BB2_6 Depth=1
	s_or_b32 s19, s40, exec_lo
.LBB2_27:                               ;   in Loop: Header=BB2_6 Depth=1
	s_wait_xcnt 0x0
	s_or_b32 exec_lo, exec_lo, s18
	s_delay_alu instid0(SALU_CYCLE_1) | instskip(SKIP_1) | instid1(SALU_CYCLE_1)
	s_and_not1_b32 s18, s40, exec_lo
	s_and_b32 s19, s19, exec_lo
	s_or_b32 s40, s18, s19
.LBB2_28:                               ;   in Loop: Header=BB2_6 Depth=1
	s_or_b32 exec_lo, exec_lo, s4
	v_mov_b64_e32 v[4:5], v[14:15]
	s_and_saveexec_b32 s4, s40
	s_cbranch_execz .LBB2_5
.LBB2_29:                               ;   in Loop: Header=BB2_6 Depth=1
	s_delay_alu instid0(VALU_DEP_1)
	v_lshl_add_u64 v[4:5], v[4:5], 4, s[16:17]
	global_store_b128 v[4:5], v[0:3], off
	s_branch .LBB2_5
.LBB2_30:
	s_endpgm
	.section	.rodata,"a",@progbits
	.p2align	6, 0x0
	.amdhsa_kernel _ZL19rocblas_hpmv_kernelILi64ELi16EPK19rocblas_complex_numIdES3_PS1_EvbiT1_T2_llS6_lllS5_T3_llli
		.amdhsa_group_segment_fixed_size 16384
		.amdhsa_private_segment_fixed_size 0
		.amdhsa_kernarg_size 116
		.amdhsa_user_sgpr_count 2
		.amdhsa_user_sgpr_dispatch_ptr 0
		.amdhsa_user_sgpr_queue_ptr 0
		.amdhsa_user_sgpr_kernarg_segment_ptr 1
		.amdhsa_user_sgpr_dispatch_id 0
		.amdhsa_user_sgpr_kernarg_preload_length 0
		.amdhsa_user_sgpr_kernarg_preload_offset 0
		.amdhsa_user_sgpr_private_segment_size 0
		.amdhsa_wavefront_size32 1
		.amdhsa_uses_dynamic_stack 0
		.amdhsa_enable_private_segment 0
		.amdhsa_system_sgpr_workgroup_id_x 1
		.amdhsa_system_sgpr_workgroup_id_y 0
		.amdhsa_system_sgpr_workgroup_id_z 1
		.amdhsa_system_sgpr_workgroup_info 0
		.amdhsa_system_vgpr_workitem_id 1
		.amdhsa_next_free_vgpr 46
		.amdhsa_next_free_sgpr 45
		.amdhsa_named_barrier_count 0
		.amdhsa_reserve_vcc 1
		.amdhsa_float_round_mode_32 0
		.amdhsa_float_round_mode_16_64 0
		.amdhsa_float_denorm_mode_32 3
		.amdhsa_float_denorm_mode_16_64 3
		.amdhsa_fp16_overflow 0
		.amdhsa_memory_ordered 1
		.amdhsa_forward_progress 1
		.amdhsa_inst_pref_size 14
		.amdhsa_round_robin_scheduling 0
		.amdhsa_exception_fp_ieee_invalid_op 0
		.amdhsa_exception_fp_denorm_src 0
		.amdhsa_exception_fp_ieee_div_zero 0
		.amdhsa_exception_fp_ieee_overflow 0
		.amdhsa_exception_fp_ieee_underflow 0
		.amdhsa_exception_fp_ieee_inexact 0
		.amdhsa_exception_int_div_zero 0
	.end_amdhsa_kernel
	.section	.text._ZL19rocblas_hpmv_kernelILi64ELi16EPK19rocblas_complex_numIdES3_PS1_EvbiT1_T2_llS6_lllS5_T3_llli,"axG",@progbits,_ZL19rocblas_hpmv_kernelILi64ELi16EPK19rocblas_complex_numIdES3_PS1_EvbiT1_T2_llS6_lllS5_T3_llli,comdat
.Lfunc_end2:
	.size	_ZL19rocblas_hpmv_kernelILi64ELi16EPK19rocblas_complex_numIdES3_PS1_EvbiT1_T2_llS6_lllS5_T3_llli, .Lfunc_end2-_ZL19rocblas_hpmv_kernelILi64ELi16EPK19rocblas_complex_numIdES3_PS1_EvbiT1_T2_llS6_lllS5_T3_llli
                                        ; -- End function
	.set _ZL19rocblas_hpmv_kernelILi64ELi16EPK19rocblas_complex_numIdES3_PS1_EvbiT1_T2_llS6_lllS5_T3_llli.num_vgpr, 46
	.set _ZL19rocblas_hpmv_kernelILi64ELi16EPK19rocblas_complex_numIdES3_PS1_EvbiT1_T2_llS6_lllS5_T3_llli.num_agpr, 0
	.set _ZL19rocblas_hpmv_kernelILi64ELi16EPK19rocblas_complex_numIdES3_PS1_EvbiT1_T2_llS6_lllS5_T3_llli.numbered_sgpr, 45
	.set _ZL19rocblas_hpmv_kernelILi64ELi16EPK19rocblas_complex_numIdES3_PS1_EvbiT1_T2_llS6_lllS5_T3_llli.num_named_barrier, 0
	.set _ZL19rocblas_hpmv_kernelILi64ELi16EPK19rocblas_complex_numIdES3_PS1_EvbiT1_T2_llS6_lllS5_T3_llli.private_seg_size, 0
	.set _ZL19rocblas_hpmv_kernelILi64ELi16EPK19rocblas_complex_numIdES3_PS1_EvbiT1_T2_llS6_lllS5_T3_llli.uses_vcc, 1
	.set _ZL19rocblas_hpmv_kernelILi64ELi16EPK19rocblas_complex_numIdES3_PS1_EvbiT1_T2_llS6_lllS5_T3_llli.uses_flat_scratch, 0
	.set _ZL19rocblas_hpmv_kernelILi64ELi16EPK19rocblas_complex_numIdES3_PS1_EvbiT1_T2_llS6_lllS5_T3_llli.has_dyn_sized_stack, 0
	.set _ZL19rocblas_hpmv_kernelILi64ELi16EPK19rocblas_complex_numIdES3_PS1_EvbiT1_T2_llS6_lllS5_T3_llli.has_recursion, 0
	.set _ZL19rocblas_hpmv_kernelILi64ELi16EPK19rocblas_complex_numIdES3_PS1_EvbiT1_T2_llS6_lllS5_T3_llli.has_indirect_call, 0
	.section	.AMDGPU.csdata,"",@progbits
; Kernel info:
; codeLenInByte = 1668
; TotalNumSgprs: 47
; NumVgprs: 46
; ScratchSize: 0
; MemoryBound: 0
; FloatMode: 240
; IeeeMode: 1
; LDSByteSize: 16384 bytes/workgroup (compile time only)
; SGPRBlocks: 0
; VGPRBlocks: 2
; NumSGPRsForWavesPerEU: 47
; NumVGPRsForWavesPerEU: 46
; NamedBarCnt: 0
; Occupancy: 16
; WaveLimiterHint : 0
; COMPUTE_PGM_RSRC2:SCRATCH_EN: 0
; COMPUTE_PGM_RSRC2:USER_SGPR: 2
; COMPUTE_PGM_RSRC2:TRAP_HANDLER: 0
; COMPUTE_PGM_RSRC2:TGID_X_EN: 1
; COMPUTE_PGM_RSRC2:TGID_Y_EN: 0
; COMPUTE_PGM_RSRC2:TGID_Z_EN: 1
; COMPUTE_PGM_RSRC2:TIDIG_COMP_CNT: 1
	.section	.text._ZL19rocblas_hpmv_kernelILi64ELi16E19rocblas_complex_numIdEPKS1_PS1_EvbiT1_T2_llS6_lllS5_T3_llli,"axG",@progbits,_ZL19rocblas_hpmv_kernelILi64ELi16E19rocblas_complex_numIdEPKS1_PS1_EvbiT1_T2_llS6_lllS5_T3_llli,comdat
	.globl	_ZL19rocblas_hpmv_kernelILi64ELi16E19rocblas_complex_numIdEPKS1_PS1_EvbiT1_T2_llS6_lllS5_T3_llli ; -- Begin function _ZL19rocblas_hpmv_kernelILi64ELi16E19rocblas_complex_numIdEPKS1_PS1_EvbiT1_T2_llS6_lllS5_T3_llli
	.p2align	8
	.type	_ZL19rocblas_hpmv_kernelILi64ELi16E19rocblas_complex_numIdEPKS1_PS1_EvbiT1_T2_llS6_lllS5_T3_llli,@function
_ZL19rocblas_hpmv_kernelILi64ELi16E19rocblas_complex_numIdEPKS1_PS1_EvbiT1_T2_llS6_lllS5_T3_llli: ; @_ZL19rocblas_hpmv_kernelILi64ELi16E19rocblas_complex_numIdEPKS1_PS1_EvbiT1_T2_llS6_lllS5_T3_llli
; %bb.0:
	s_clause 0x1
	s_load_b512 s[8:23], s[0:1], 0x8
	s_load_b256 s[24:31], s[0:1], 0x48
	s_wait_kmcnt 0x0
	v_cmp_neq_f64_e64 s2, s[8:9], 0
	v_cmp_neq_f64_e64 s3, s[10:11], 0
	s_or_b32 s2, s2, s3
	s_mov_b32 s3, -1
	s_and_b32 vcc_lo, exec_lo, s2
	s_cbranch_vccnz .LBB3_2
; %bb.1:
	v_cmp_neq_f64_e64 s3, s[26:27], 1.0
	v_cmp_neq_f64_e64 s4, s[28:29], 0
	s_or_b32 s3, s3, s4
.LBB3_2:
	s_delay_alu instid0(SALU_CYCLE_1)
	s_and_not1_b32 vcc_lo, exec_lo, s3
	s_cbranch_vccnz .LBB3_30
; %bb.3:
	s_load_b32 s33, s[0:1], 0x80
	s_bfe_u32 s3, ttmp6, 0x40014
	s_lshr_b32 s4, ttmp7, 16
	s_add_co_i32 s3, s3, 1
	s_bfe_u32 s6, ttmp6, 0x40008
	s_mul_i32 s5, s4, s3
	s_getreg_b32 s3, hwreg(HW_REG_IB_STS2, 6, 4)
	s_add_co_i32 s6, s6, s5
	s_cmp_eq_u32 s3, 0
	s_mov_b32 s35, 0
	s_cselect_b32 s34, s4, s6
	s_wait_kmcnt 0x0
	s_cmp_ge_u32 s34, s33
	s_cbranch_scc1 .LBB3_30
; %bb.4:
	s_clause 0x1
	s_load_b128 s[4:7], s[0:1], 0x68
	s_load_b64 s[36:37], s[0:1], 0x0
	s_xor_b32 s38, s2, -1
	s_lshl_b64 s[14:15], s[14:15], 4
	v_bfe_u32 v1, v0, 10, 10
	v_and_b32_e32 v4, 0x3ff, v0
	s_add_nc_u64 s[12:13], s[12:13], s[14:15]
	v_and_b32_e32 v0, 63, v0
	s_delay_alu instid0(VALU_DEP_2) | instskip(NEXT) | instid1(VALU_DEP_1)
	v_lshl_add_u32 v5, v1, 6, v4
	v_lshrrev_b32_e32 v12, 6, v5
	v_cmp_gt_u32_e32 vcc_lo, 64, v5
	s_delay_alu instid0(VALU_DEP_4)
	v_and_or_b32 v6, 0x1ffc0, v5, v0
	s_wait_kmcnt 0x0
	s_lshl_b64 s[4:5], s[4:5], 4
	s_bitcmp1_b32 s36, 0
	s_add_nc_u64 s[14:15], s[30:31], s[4:5]
	s_cselect_b32 s2, -1, 0
	s_bfe_u32 s36, ttmp6, 0x4000c
	s_and_b32 s39, ttmp6, 15
	s_add_co_i32 s36, s36, 1
	s_mov_b32 s40, s37
	s_mul_i32 s36, ttmp9, s36
	v_lshlrev_b32_e32 v20, 4, v6
	s_add_co_i32 s39, s39, s36
	s_cmp_eq_u32 s3, 0
	v_cmp_neq_f64_e64 s36, s[26:27], 0
	s_cselect_b32 s3, ttmp9, s39
	v_cmp_neq_f64_e64 s39, s[28:29], 0
	v_add_nc_u32_e32 v2, s3, v1
	v_lshl_or_b32 v21, s3, 6, v0
	v_lshlrev_b32_e32 v1, 10, v1
	s_lshl_b64 s[4:5], s[20:21], 4
	s_ashr_i32 s41, s37, 31
	v_lshl_add_u32 v8, v2, 6, v4
	v_lshlrev_b32_e32 v4, 4, v4
	s_add_nc_u64 s[4:5], s[18:19], s[4:5]
	s_lshl_b32 s30, s37, 1
	s_lshl_b64 s[18:19], s[24:25], 4
	v_ashrrev_i32_e32 v9, 31, v8
	v_cmp_gt_i32_e64 s3, s37, v8
	s_or_b32 s30, s30, 1
	s_lshl_b64 s[20:21], s[22:23], 8
	v_mul_u64_e32 v[10:11], s[6:7], v[8:9]
	v_mov_b32_e32 v9, 0
	s_delay_alu instid0(VALU_DEP_1)
	v_mov_b32_e32 v13, v9
	v_mul_u64_e32 v[14:15], s[6:7], v[8:9]
	s_load_b64 s[6:7], s[0:1], 0x78
	s_wait_xcnt 0x0
	v_cmp_gt_i32_e64 s1, s37, v21
	v_cmp_gt_i32_e64 s0, s37, v12
	v_mul_u64_e32 v[2:3], s[22:23], v[12:13]
	v_add_nc_u32_e32 v13, v4, v1
	s_or_b32 s36, s36, s39
	s_xor_b32 s39, s2, -1
	s_delay_alu instid0(VALU_DEP_2) | instskip(SKIP_1) | instid1(SALU_CYCLE_1)
	v_lshl_add_u64 v[0:1], v[2:3], 4, s[4:5]
	s_and_b32 s5, vcc_lo, s1
	s_and_b32 s31, s5, s3
	v_cmp_gt_i64_e64 s3, s[40:41], v[8:9]
	s_delay_alu instid0(VALU_DEP_2)
	v_add_nc_u64_e32 v[16:17], 8, v[0:1]
	s_branch .LBB3_6
.LBB3_5:                                ;   in Loop: Header=BB3_6 Depth=1
	s_wait_xcnt 0x0
	s_or_b32 exec_lo, exec_lo, s4
	s_add_co_i32 s34, s34, 0x10000
	s_delay_alu instid0(SALU_CYCLE_1)
	s_cmp_lt_u32 s34, s33
	s_cbranch_scc0 .LBB3_30
.LBB3_6:                                ; =>This Loop Header: Depth=1
                                        ;     Child Loop BB3_17 Depth 2
	s_wait_kmcnt 0x0
	s_mul_u64 s[22:23], s[6:7], s[34:35]
	s_mov_b32 s40, 0
	s_lshl_b64 s[22:23], s[22:23], 4
	s_and_not1_b32 vcc_lo, exec_lo, s38
	s_add_nc_u64 s[22:23], s[14:15], s[22:23]
	s_mov_b32 s4, -1
                                        ; implicit-def: $vgpr2_vgpr3
	s_cbranch_vccnz .LBB3_12
; %bb.7:                                ;   in Loop: Header=BB3_6 Depth=1
	s_mov_b32 s4, 0
                                        ; implicit-def: $vgpr2_vgpr3
	s_and_saveexec_b32 s24, s31
	s_cbranch_execz .LBB3_11
; %bb.8:                                ;   in Loop: Header=BB3_6 Depth=1
	v_mov_b64_e32 v[2:3], 0
	v_mov_b64_e32 v[0:1], 0
	s_and_not1_b32 vcc_lo, exec_lo, s36
	s_cbranch_vccnz .LBB3_10
; %bb.9:                                ;   in Loop: Header=BB3_6 Depth=1
	v_lshl_add_u64 v[0:1], v[10:11], 4, s[22:23]
	global_load_b128 v[4:7], v[0:1], off
	s_wait_loadcnt 0x0
	s_wait_xcnt 0x0
	v_mul_f64_e32 v[0:1], s[28:29], v[6:7]
	v_mul_f64_e32 v[2:3], s[26:27], v[6:7]
	s_delay_alu instid0(VALU_DEP_2) | instskip(NEXT) | instid1(VALU_DEP_2)
	v_fma_f64 v[0:1], s[26:27], v[4:5], -v[0:1]
	v_fmac_f64_e32 v[2:3], s[28:29], v[4:5]
.LBB3_10:                               ;   in Loop: Header=BB3_6 Depth=1
	s_mov_b32 s40, exec_lo
.LBB3_11:                               ;   in Loop: Header=BB3_6 Depth=1
	s_or_b32 exec_lo, exec_lo, s24
.LBB3_12:                               ;   in Loop: Header=BB3_6 Depth=1
	s_delay_alu instid0(SALU_CYCLE_1)
	s_and_b32 vcc_lo, exec_lo, s4
	s_cbranch_vccz .LBB3_20
; %bb.13:                               ;   in Loop: Header=BB3_6 Depth=1
	v_mov_b64_e32 v[2:3], 0
	v_mov_b64_e32 v[0:1], 0
	s_and_saveexec_b32 s41, s0
	s_cbranch_execz .LBB3_22
; %bb.14:                               ;   in Loop: Header=BB3_6 Depth=1
	v_mad_nc_u64_u32 v[4:5], s18, s34, v[16:17]
	v_mov_b64_e32 v[2:3], 0
	s_mul_u64 s[24:25], s[16:17], s[34:35]
	v_mov_b32_e32 v22, v12
	s_lshl_b64 s[24:25], s[24:25], 4
	s_mov_b32 s42, 0
	s_add_nc_u64 s[24:25], s[12:13], s[24:25]
	s_delay_alu instid0(VALU_DEP_2) | instskip(NEXT) | instid1(VALU_DEP_4)
	v_mov_b64_e32 v[0:1], v[2:3]
	v_mad_u32 v5, s19, s34, v5
	s_branch .LBB3_17
.LBB3_15:                               ;   in Loop: Header=BB3_17 Depth=2
	s_wait_xcnt 0x0
	s_or_b32 exec_lo, exec_lo, s44
	global_load_b128 v[24:27], v[4:5], off offset:-8
	global_load_b64 v[28:29], v[18:19], off
	s_wait_loadcnt 0x1
	s_wait_xcnt 0x0
	v_mul_f64_e32 v[18:19], v[6:7], v[26:27]
	s_wait_loadcnt 0x0
	v_mul_f64_e32 v[26:27], v[28:29], v[26:27]
	s_delay_alu instid0(VALU_DEP_2) | instskip(NEXT) | instid1(VALU_DEP_2)
	v_fma_f64 v[18:19], v[28:29], v[24:25], -v[18:19]
	v_fmac_f64_e32 v[26:27], v[6:7], v[24:25]
	s_delay_alu instid0(VALU_DEP_2) | instskip(NEXT) | instid1(VALU_DEP_2)
	v_add_f64_e32 v[0:1], v[0:1], v[18:19]
	v_add_f64_e32 v[2:3], v[2:3], v[26:27]
.LBB3_16:                               ;   in Loop: Header=BB3_17 Depth=2
	s_or_b32 exec_lo, exec_lo, s43
	v_add_nc_u32_e32 v22, 16, v22
	s_delay_alu instid0(VALU_DEP_2) | instskip(NEXT) | instid1(VALU_DEP_2)
	v_add_nc_u64_e32 v[4:5], s[20:21], v[4:5]
	v_cmp_le_i32_e32 vcc_lo, s37, v22
	s_or_b32 s42, vcc_lo, s42
	s_delay_alu instid0(SALU_CYCLE_1)
	s_and_not1_b32 exec_lo, exec_lo, s42
	s_cbranch_execz .LBB3_21
.LBB3_17:                               ;   Parent Loop BB3_6 Depth=1
                                        ; =>  This Inner Loop Header: Depth=2
	s_and_saveexec_b32 s43, s1
	s_cbranch_execz .LBB3_16
; %bb.18:                               ;   in Loop: Header=BB3_17 Depth=2
	v_cmp_le_i32_e32 vcc_lo, v21, v22
	v_cmp_ge_i32_e64 s4, v21, v22
	s_or_b32 s44, s39, vcc_lo
	s_or_b32 s4, s2, s4
	s_delay_alu instid0(SALU_CYCLE_1) | instskip(SKIP_2) | instid1(VALU_DEP_1)
	s_and_b32 vcc_lo, s44, s4
	s_mov_b32 s44, exec_lo
	v_dual_cndmask_b32 v23, v22, v21 :: v_dual_cndmask_b32 v6, v21, v22
	v_dual_sub_nc_u32 v7, s30, v6 :: v_dual_add_nc_u32 v8, 1, v6
	s_delay_alu instid0(VALU_DEP_1) | instskip(NEXT) | instid1(VALU_DEP_1)
	v_dual_cndmask_b32 v18, v7, v8, s2 :: v_dual_ashrrev_i32 v7, 31, v6
	v_ashrrev_i32_e32 v19, 31, v18
	s_delay_alu instid0(VALU_DEP_1) | instskip(SKIP_1) | instid1(VALU_DEP_1)
	v_mul_u64_e32 v[18:19], v[18:19], v[6:7]
	v_cndmask_b32_e64 v6, v6, 0, s2
	v_sub_nc_u32_e32 v24, v23, v6
	v_mov_b64_e32 v[6:7], 0
	s_delay_alu instid0(VALU_DEP_2) | instskip(NEXT) | instid1(VALU_DEP_1)
	v_dual_ashrrev_i32 v25, 31, v24 :: v_dual_lshrrev_b32 v8, 31, v19
	v_add_nc_u64_e32 v[18:19], v[18:19], v[8:9]
	s_delay_alu instid0(VALU_DEP_1) | instskip(NEXT) | instid1(VALU_DEP_1)
	v_lshlrev_b64_e32 v[18:19], 3, v[18:19]
	v_and_b32_e32 v18, -16, v18
	s_delay_alu instid0(VALU_DEP_1) | instskip(NEXT) | instid1(VALU_DEP_1)
	v_add_nc_u64_e32 v[18:19], s[24:25], v[18:19]
	v_lshl_add_u64 v[18:19], v[24:25], 4, v[18:19]
	v_cmpx_ne_u32_e64 v21, v22
	s_cbranch_execz .LBB3_15
; %bb.19:                               ;   in Loop: Header=BB3_17 Depth=2
	global_load_b64 v[6:7], v[18:19], off offset:8
	s_wait_loadcnt 0x0
	v_xor_b32_e32 v8, 0x80000000, v7
	s_delay_alu instid0(VALU_DEP_1)
	v_cndmask_b32_e32 v7, v8, v7, vcc_lo
	s_branch .LBB3_15
.LBB3_20:                               ;   in Loop: Header=BB3_6 Depth=1
	v_mov_b64_e32 v[4:5], v[10:11]
	s_and_saveexec_b32 s4, s40
	s_cbranch_execz .LBB3_5
	s_branch .LBB3_29
.LBB3_21:                               ;   in Loop: Header=BB3_6 Depth=1
	s_or_b32 exec_lo, exec_lo, s42
.LBB3_22:                               ;   in Loop: Header=BB3_6 Depth=1
	s_delay_alu instid0(SALU_CYCLE_1)
	s_or_b32 exec_lo, exec_lo, s41
	ds_store_b128 v20, v[0:3]
	s_wait_dscnt 0x0
	s_barrier_signal -1
	s_barrier_wait -1
                                        ; implicit-def: $vgpr2_vgpr3
	s_and_saveexec_b32 s4, s5
	s_cbranch_execz .LBB3_28
; %bb.23:                               ;   in Loop: Header=BB3_6 Depth=1
	ds_load_b128 v[0:3], v13
	ds_load_b128 v[4:7], v13 offset:1024
	s_mov_b32 s25, s40
	s_wait_dscnt 0x0
	v_add_f64_e32 v[18:19], v[0:1], v[4:5]
	v_add_f64_e32 v[22:23], v[2:3], v[6:7]
	ds_load_b128 v[0:3], v13 offset:2048
	ds_load_b128 v[4:7], v13 offset:3072
	s_wait_dscnt 0x1
	v_add_f64_e32 v[0:1], v[18:19], v[0:1]
	v_add_f64_e32 v[2:3], v[22:23], v[2:3]
	s_wait_dscnt 0x0
	s_delay_alu instid0(VALU_DEP_2) | instskip(NEXT) | instid1(VALU_DEP_2)
	v_add_f64_e32 v[18:19], v[0:1], v[4:5]
	v_add_f64_e32 v[22:23], v[2:3], v[6:7]
	ds_load_b128 v[0:3], v13 offset:4096
	ds_load_b128 v[4:7], v13 offset:5120
	s_wait_dscnt 0x1
	v_add_f64_e32 v[0:1], v[18:19], v[0:1]
	v_add_f64_e32 v[2:3], v[22:23], v[2:3]
	s_wait_dscnt 0x0
	s_delay_alu instid0(VALU_DEP_2) | instskip(NEXT) | instid1(VALU_DEP_2)
	v_add_f64_e32 v[18:19], v[0:1], v[4:5]
	v_add_f64_e32 v[22:23], v[2:3], v[6:7]
	ds_load_b128 v[0:3], v13 offset:6144
	ds_load_b128 v[4:7], v13 offset:7168
	s_wait_dscnt 0x1
	v_add_f64_e32 v[0:1], v[18:19], v[0:1]
	v_add_f64_e32 v[2:3], v[22:23], v[2:3]
	s_wait_dscnt 0x0
	s_delay_alu instid0(VALU_DEP_2) | instskip(NEXT) | instid1(VALU_DEP_2)
	v_add_f64_e32 v[18:19], v[0:1], v[4:5]
	v_add_f64_e32 v[22:23], v[2:3], v[6:7]
	ds_load_b128 v[0:3], v13 offset:8192
	ds_load_b128 v[4:7], v13 offset:9216
	s_wait_dscnt 0x1
	v_add_f64_e32 v[0:1], v[18:19], v[0:1]
	v_add_f64_e32 v[2:3], v[22:23], v[2:3]
	s_wait_dscnt 0x0
	s_delay_alu instid0(VALU_DEP_2) | instskip(NEXT) | instid1(VALU_DEP_2)
	v_add_f64_e32 v[0:1], v[0:1], v[4:5]
	v_add_f64_e32 v[2:3], v[2:3], v[6:7]
	ds_load_b128 v[4:7], v13 offset:10240
	ds_load_b128 v[22:25], v13 offset:11264
	s_wait_dscnt 0x1
	v_add_f64_e32 v[26:27], v[0:1], v[4:5]
	v_add_f64_e32 v[28:29], v[2:3], v[6:7]
	ds_load_b128 v[4:7], v13 offset:12288
	ds_load_b128 v[30:33], v13 offset:13312
	s_wait_dscnt 0x2
	v_add_f64_e32 v[22:23], v[26:27], v[22:23]
	v_add_f64_e32 v[24:25], v[28:29], v[24:25]
	s_wait_dscnt 0x1
	s_delay_alu instid0(VALU_DEP_2) | instskip(NEXT) | instid1(VALU_DEP_2)
	v_add_f64_e32 v[34:35], v[22:23], v[4:5]
	v_add_f64_e32 v[36:37], v[24:25], v[6:7]
	ds_load_b128 v[4:7], v13 offset:14336
	ds_load_b128 v[38:41], v13 offset:15360
	s_wait_dscnt 0x2
	v_add_f64_e32 v[30:31], v[34:35], v[30:31]
	v_add_f64_e32 v[32:33], v[36:37], v[32:33]
	s_wait_dscnt 0x1
	s_delay_alu instid0(VALU_DEP_2) | instskip(NEXT) | instid1(VALU_DEP_2)
	v_add_f64_e32 v[42:43], v[30:31], v[4:5]
	v_add_f64_e32 v[44:45], v[32:33], v[6:7]
	ds_store_b128 v13, v[0:3]
	ds_store_b128 v13, v[26:29]
	;; [unrolled: 1-line block ×6, first 2 shown]
                                        ; implicit-def: $vgpr2_vgpr3
	s_wait_dscnt 0x6
	v_add_f64_e32 v[4:5], v[42:43], v[38:39]
	v_add_f64_e32 v[6:7], v[44:45], v[40:41]
	ds_store_b128 v13, v[4:7]
	s_and_saveexec_b32 s24, s3
	s_cbranch_execz .LBB3_27
; %bb.24:                               ;   in Loop: Header=BB3_6 Depth=1
	v_mul_f64_e32 v[0:1], s[10:11], v[6:7]
	v_mul_f64_e32 v[2:3], s[8:9], v[6:7]
	s_and_not1_b32 vcc_lo, exec_lo, s36
	s_delay_alu instid0(VALU_DEP_2) | instskip(NEXT) | instid1(VALU_DEP_2)
	v_fma_f64 v[0:1], s[8:9], v[4:5], -v[0:1]
	v_fmac_f64_e32 v[2:3], s[10:11], v[4:5]
	s_cbranch_vccnz .LBB3_26
; %bb.25:                               ;   in Loop: Header=BB3_6 Depth=1
	v_lshl_add_u64 v[4:5], v[14:15], 4, s[22:23]
	global_load_b128 v[4:7], v[4:5], off
	s_wait_loadcnt 0x0
	v_mul_f64_e32 v[18:19], s[28:29], v[6:7]
	v_mul_f64_e32 v[6:7], s[26:27], v[6:7]
	s_delay_alu instid0(VALU_DEP_2) | instskip(NEXT) | instid1(VALU_DEP_2)
	v_fma_f64 v[18:19], s[26:27], v[4:5], -v[18:19]
	v_fmac_f64_e32 v[6:7], s[28:29], v[4:5]
	s_delay_alu instid0(VALU_DEP_2) | instskip(NEXT) | instid1(VALU_DEP_2)
	v_add_f64_e32 v[0:1], v[0:1], v[18:19]
	v_add_f64_e32 v[2:3], v[2:3], v[6:7]
.LBB3_26:                               ;   in Loop: Header=BB3_6 Depth=1
	s_or_b32 s25, s40, exec_lo
.LBB3_27:                               ;   in Loop: Header=BB3_6 Depth=1
	s_wait_xcnt 0x0
	s_or_b32 exec_lo, exec_lo, s24
	s_delay_alu instid0(SALU_CYCLE_1) | instskip(SKIP_1) | instid1(SALU_CYCLE_1)
	s_and_not1_b32 s24, s40, exec_lo
	s_and_b32 s25, s25, exec_lo
	s_or_b32 s40, s24, s25
.LBB3_28:                               ;   in Loop: Header=BB3_6 Depth=1
	s_or_b32 exec_lo, exec_lo, s4
	v_mov_b64_e32 v[4:5], v[14:15]
	s_and_saveexec_b32 s4, s40
	s_cbranch_execz .LBB3_5
.LBB3_29:                               ;   in Loop: Header=BB3_6 Depth=1
	s_delay_alu instid0(VALU_DEP_1)
	v_lshl_add_u64 v[4:5], v[4:5], 4, s[22:23]
	global_store_b128 v[4:5], v[0:3], off
	s_branch .LBB3_5
.LBB3_30:
	s_endpgm
	.section	.rodata,"a",@progbits
	.p2align	6, 0x0
	.amdhsa_kernel _ZL19rocblas_hpmv_kernelILi64ELi16E19rocblas_complex_numIdEPKS1_PS1_EvbiT1_T2_llS6_lllS5_T3_llli
		.amdhsa_group_segment_fixed_size 16384
		.amdhsa_private_segment_fixed_size 0
		.amdhsa_kernarg_size 132
		.amdhsa_user_sgpr_count 2
		.amdhsa_user_sgpr_dispatch_ptr 0
		.amdhsa_user_sgpr_queue_ptr 0
		.amdhsa_user_sgpr_kernarg_segment_ptr 1
		.amdhsa_user_sgpr_dispatch_id 0
		.amdhsa_user_sgpr_kernarg_preload_length 0
		.amdhsa_user_sgpr_kernarg_preload_offset 0
		.amdhsa_user_sgpr_private_segment_size 0
		.amdhsa_wavefront_size32 1
		.amdhsa_uses_dynamic_stack 0
		.amdhsa_enable_private_segment 0
		.amdhsa_system_sgpr_workgroup_id_x 1
		.amdhsa_system_sgpr_workgroup_id_y 0
		.amdhsa_system_sgpr_workgroup_id_z 1
		.amdhsa_system_sgpr_workgroup_info 0
		.amdhsa_system_vgpr_workitem_id 1
		.amdhsa_next_free_vgpr 46
		.amdhsa_next_free_sgpr 45
		.amdhsa_named_barrier_count 0
		.amdhsa_reserve_vcc 1
		.amdhsa_float_round_mode_32 0
		.amdhsa_float_round_mode_16_64 0
		.amdhsa_float_denorm_mode_32 3
		.amdhsa_float_denorm_mode_16_64 3
		.amdhsa_fp16_overflow 0
		.amdhsa_memory_ordered 1
		.amdhsa_forward_progress 1
		.amdhsa_inst_pref_size 13
		.amdhsa_round_robin_scheduling 0
		.amdhsa_exception_fp_ieee_invalid_op 0
		.amdhsa_exception_fp_denorm_src 0
		.amdhsa_exception_fp_ieee_div_zero 0
		.amdhsa_exception_fp_ieee_overflow 0
		.amdhsa_exception_fp_ieee_underflow 0
		.amdhsa_exception_fp_ieee_inexact 0
		.amdhsa_exception_int_div_zero 0
	.end_amdhsa_kernel
	.section	.text._ZL19rocblas_hpmv_kernelILi64ELi16E19rocblas_complex_numIdEPKS1_PS1_EvbiT1_T2_llS6_lllS5_T3_llli,"axG",@progbits,_ZL19rocblas_hpmv_kernelILi64ELi16E19rocblas_complex_numIdEPKS1_PS1_EvbiT1_T2_llS6_lllS5_T3_llli,comdat
.Lfunc_end3:
	.size	_ZL19rocblas_hpmv_kernelILi64ELi16E19rocblas_complex_numIdEPKS1_PS1_EvbiT1_T2_llS6_lllS5_T3_llli, .Lfunc_end3-_ZL19rocblas_hpmv_kernelILi64ELi16E19rocblas_complex_numIdEPKS1_PS1_EvbiT1_T2_llS6_lllS5_T3_llli
                                        ; -- End function
	.set _ZL19rocblas_hpmv_kernelILi64ELi16E19rocblas_complex_numIdEPKS1_PS1_EvbiT1_T2_llS6_lllS5_T3_llli.num_vgpr, 46
	.set _ZL19rocblas_hpmv_kernelILi64ELi16E19rocblas_complex_numIdEPKS1_PS1_EvbiT1_T2_llS6_lllS5_T3_llli.num_agpr, 0
	.set _ZL19rocblas_hpmv_kernelILi64ELi16E19rocblas_complex_numIdEPKS1_PS1_EvbiT1_T2_llS6_lllS5_T3_llli.numbered_sgpr, 45
	.set _ZL19rocblas_hpmv_kernelILi64ELi16E19rocblas_complex_numIdEPKS1_PS1_EvbiT1_T2_llS6_lllS5_T3_llli.num_named_barrier, 0
	.set _ZL19rocblas_hpmv_kernelILi64ELi16E19rocblas_complex_numIdEPKS1_PS1_EvbiT1_T2_llS6_lllS5_T3_llli.private_seg_size, 0
	.set _ZL19rocblas_hpmv_kernelILi64ELi16E19rocblas_complex_numIdEPKS1_PS1_EvbiT1_T2_llS6_lllS5_T3_llli.uses_vcc, 1
	.set _ZL19rocblas_hpmv_kernelILi64ELi16E19rocblas_complex_numIdEPKS1_PS1_EvbiT1_T2_llS6_lllS5_T3_llli.uses_flat_scratch, 0
	.set _ZL19rocblas_hpmv_kernelILi64ELi16E19rocblas_complex_numIdEPKS1_PS1_EvbiT1_T2_llS6_lllS5_T3_llli.has_dyn_sized_stack, 0
	.set _ZL19rocblas_hpmv_kernelILi64ELi16E19rocblas_complex_numIdEPKS1_PS1_EvbiT1_T2_llS6_lllS5_T3_llli.has_recursion, 0
	.set _ZL19rocblas_hpmv_kernelILi64ELi16E19rocblas_complex_numIdEPKS1_PS1_EvbiT1_T2_llS6_lllS5_T3_llli.has_indirect_call, 0
	.section	.AMDGPU.csdata,"",@progbits
; Kernel info:
; codeLenInByte = 1660
; TotalNumSgprs: 47
; NumVgprs: 46
; ScratchSize: 0
; MemoryBound: 0
; FloatMode: 240
; IeeeMode: 1
; LDSByteSize: 16384 bytes/workgroup (compile time only)
; SGPRBlocks: 0
; VGPRBlocks: 2
; NumSGPRsForWavesPerEU: 47
; NumVGPRsForWavesPerEU: 46
; NamedBarCnt: 0
; Occupancy: 16
; WaveLimiterHint : 0
; COMPUTE_PGM_RSRC2:SCRATCH_EN: 0
; COMPUTE_PGM_RSRC2:USER_SGPR: 2
; COMPUTE_PGM_RSRC2:TRAP_HANDLER: 0
; COMPUTE_PGM_RSRC2:TGID_X_EN: 1
; COMPUTE_PGM_RSRC2:TGID_Y_EN: 0
; COMPUTE_PGM_RSRC2:TGID_Z_EN: 1
; COMPUTE_PGM_RSRC2:TIDIG_COMP_CNT: 1
	.section	.text._ZL19rocblas_hpmv_kernelILi64ELi16EPK19rocblas_complex_numIfEPKS3_PKPS1_EvbiT1_T2_llSA_lllS9_T3_llli,"axG",@progbits,_ZL19rocblas_hpmv_kernelILi64ELi16EPK19rocblas_complex_numIfEPKS3_PKPS1_EvbiT1_T2_llSA_lllS9_T3_llli,comdat
	.globl	_ZL19rocblas_hpmv_kernelILi64ELi16EPK19rocblas_complex_numIfEPKS3_PKPS1_EvbiT1_T2_llSA_lllS9_T3_llli ; -- Begin function _ZL19rocblas_hpmv_kernelILi64ELi16EPK19rocblas_complex_numIfEPKS3_PKPS1_EvbiT1_T2_llSA_lllS9_T3_llli
	.p2align	8
	.type	_ZL19rocblas_hpmv_kernelILi64ELi16EPK19rocblas_complex_numIfEPKS3_PKPS1_EvbiT1_T2_llSA_lllS9_T3_llli,@function
_ZL19rocblas_hpmv_kernelILi64ELi16EPK19rocblas_complex_numIfEPKS3_PKPS1_EvbiT1_T2_llSA_lllS9_T3_llli: ; @_ZL19rocblas_hpmv_kernelILi64ELi16EPK19rocblas_complex_numIfEPKS3_PKPS1_EvbiT1_T2_llSA_lllS9_T3_llli
; %bb.0:
	s_clause 0x1
	s_load_b128 s[12:15], s[0:1], 0x8
	s_load_b256 s[4:11], s[0:1], 0x48
	s_wait_kmcnt 0x0
	s_load_b64 s[20:21], s[12:13], 0x0
	s_load_b64 s[22:23], s[4:5], 0x0
	s_wait_kmcnt 0x0
	s_cmp_eq_f32 s20, 0
	s_cselect_b32 s2, -1, 0
	s_cmp_eq_f32 s21, 0
	s_cselect_b32 s3, -1, 0
	s_delay_alu instid0(SALU_CYCLE_1) | instskip(SKIP_4) | instid1(SALU_CYCLE_1)
	s_and_b32 s2, s2, s3
	s_cmp_eq_f32 s22, 1.0
	s_cselect_b32 s3, -1, 0
	s_cmp_eq_f32 s23, 0
	s_cselect_b32 s4, -1, 0
	s_and_b32 s3, s3, s4
	s_delay_alu instid0(SALU_CYCLE_1) | instskip(NEXT) | instid1(SALU_CYCLE_1)
	s_and_b32 s2, s2, s3
	s_and_b32 vcc_lo, exec_lo, s2
	s_cbranch_vccnz .LBB4_31
; %bb.1:
	s_load_b32 s30, s[0:1], 0x70
	s_bfe_u32 s2, ttmp6, 0x40014
	s_lshr_b32 s4, ttmp7, 16
	s_add_co_i32 s2, s2, 1
	s_bfe_u32 s5, ttmp6, 0x40008
	s_mul_i32 s2, s4, s2
	s_getreg_b32 s3, hwreg(HW_REG_IB_STS2, 6, 4)
	s_add_co_i32 s5, s5, s2
	s_cmp_eq_u32 s3, 0
	s_cselect_b32 s12, s4, s5
	s_wait_kmcnt 0x0
	s_cmp_ge_u32 s12, s30
	s_cbranch_scc1 .LBB4_31
; %bb.2:
	s_clause 0x1
	s_load_b64 s[4:5], s[0:1], 0x0
	s_load_b64 s[28:29], s[0:1], 0x38
	v_bfe_u32 v1, v0, 10, 10
	v_and_b32_e32 v10, 0x3ff, v0
	s_clause 0x1
	s_load_b64 s[34:35], s[0:1], 0x18
	s_load_b128 s[16:19], s[0:1], 0x28
	s_mov_b32 s24, s23
	s_mov_b32 s25, s22
	s_mov_b32 s26, s21
	v_lshl_add_u32 v11, v1, 6, v10
	s_mov_b32 s27, s20
	s_delay_alu instid0(VALU_DEP_1) | instskip(SKIP_1) | instid1(VALU_DEP_2)
	v_dual_lshrrev_b32 v6, 6, v11 :: v_dual_bitop2_b32 v12, 63, v0 bitop3:0x40
	v_cmp_gt_u32_e32 vcc_lo, 64, v11
	v_and_or_b32 v13, 0x1ffc0, v11, v12
	s_wait_kmcnt 0x0
	s_bitcmp1_b32 s4, 0
	s_mov_b32 s38, s5
	s_cselect_b32 s2, -1, 0
	s_or_b32 s4, s20, s21
	v_cmp_gt_i32_e64 s0, s5, v6
	s_bitset0_b32 s4, 31
	v_lshlrev_b32_e32 v20, 3, v13
	s_cmp_lg_u32 s4, 0
	s_cselect_b32 s31, -1, 0
	s_cmp_eq_u32 s4, 0
	s_cselect_b32 s33, -1, 0
	s_bfe_u32 s4, ttmp6, 0x4000c
	s_and_b32 s13, ttmp6, 15
	s_add_co_i32 s4, s4, 1
	s_delay_alu instid0(SALU_CYCLE_1) | instskip(NEXT) | instid1(SALU_CYCLE_1)
	s_mul_i32 s4, ttmp9, s4
	s_add_co_i32 s13, s13, s4
	s_cmp_eq_u32 s3, 0
	s_cselect_b32 s3, ttmp9, s13
	s_cmp_neq_f32 s22, 0
	v_add_nc_u32_e32 v2, s3, v1
	v_lshl_or_b32 v21, s3, 6, v12
	s_mov_b32 s13, 0
	s_cselect_b32 s4, -1, 0
	s_cmp_neq_f32 s23, 0
	v_lshl_add_u32 v2, v2, 6, v10
	v_cmp_gt_i32_e64 s1, s5, v21
	s_cselect_b32 s37, -1, 0
	s_lshl_b32 s36, s5, 1
	v_ashrrev_i32_e32 v3, 31, v2
	v_cmp_gt_i32_e64 s3, s5, v2
	s_ashr_i32 s39, s5, 31
	s_or_b32 s37, s4, s37
	s_lshl_b64 s[18:19], s[18:19], 3
	v_mul_u64_e32 v[4:5], s[10:11], v[2:3]
	v_mov_b32_e32 v3, 0
	s_lshl_b64 s[8:9], s[8:9], 3
	s_delay_alu instid0(VALU_DEP_1) | instskip(NEXT) | instid1(VALU_DEP_1)
	v_mov_b32_e32 v7, v3
	v_mul_u64_e32 v[8:9], s[28:29], v[6:7]
	v_dual_lshlrev_b32 v7, 3, v10 :: v_dual_lshlrev_b32 v10, 9, v1
	v_mul_u64_e32 v[0:1], s[10:11], v[2:3]
	s_lshl_b64 s[10:11], s[28:29], 7
	s_lshl_b64 s[28:29], s[34:35], 3
	s_and_b32 s34, vcc_lo, s1
	s_or_b32 s35, s36, 1
	s_and_b32 s36, s34, s3
	v_cmp_gt_i64_e64 s3, s[38:39], v[2:3]
	v_add_nc_u32_e32 v7, v7, v10
	s_xor_b32 s38, s2, -1
	v_lshlrev_b64_e32 v[8:9], 3, v[8:9]
	s_branch .LBB4_6
.LBB4_3:                                ;   in Loop: Header=BB4_6 Depth=1
	s_delay_alu instid0(VALU_DEP_1)
	v_mov_b32_e32 v13, v15
	flat_store_b64 v[10:11], v[12:13]
.LBB4_4:                                ;   in Loop: Header=BB4_6 Depth=1
	s_wait_xcnt 0x0
	s_or_b32 exec_lo, exec_lo, s4
.LBB4_5:                                ;   in Loop: Header=BB4_6 Depth=1
	s_add_co_i32 s12, s12, 0x10000
	s_delay_alu instid0(SALU_CYCLE_1)
	s_cmp_lt_u32 s12, s30
	s_cbranch_scc0 .LBB4_31
.LBB4_6:                                ; =>This Loop Header: Depth=1
                                        ;     Child Loop BB4_23 Depth 2
	s_and_not1_b32 vcc_lo, exec_lo, s33
	s_mov_b32 s4, -1
	s_cbranch_vccz .LBB4_12
; %bb.7:                                ;   in Loop: Header=BB4_6 Depth=1
	v_mov_b64_e32 v[16:17], 0
	v_mov_b64_e32 v[12:13], 0
	s_and_not1_b32 vcc_lo, exec_lo, s4
	s_cbranch_vccz .LBB4_13
.LBB4_8:                                ;   in Loop: Header=BB4_6 Depth=1
	s_and_not1_b32 vcc_lo, exec_lo, s31
	s_cbranch_vccnz .LBB4_10
.LBB4_9:                                ;   in Loop: Header=BB4_6 Depth=1
	s_wait_xcnt 0x0
	s_lshl_b64 s[40:41], s[12:13], 3
	s_delay_alu instid0(SALU_CYCLE_1)
	s_add_nc_u64 s[40:41], s[16:17], s[40:41]
	global_load_b64 v[10:11], v3, s[40:41]
	s_wait_loadcnt 0x0
	v_add_nc_u64_e32 v[16:17], s[18:19], v[10:11]
.LBB4_10:                               ;   in Loop: Header=BB4_6 Depth=1
	s_wait_xcnt 0x0
	s_lshl_b64 s[40:41], s[12:13], 3
	s_and_not1_b32 vcc_lo, exec_lo, s33
	s_add_nc_u64 s[40:41], s[6:7], s[40:41]
	s_mov_b32 s4, -1
	global_load_b64 v[10:11], v3, s[40:41]
	s_wait_loadcnt 0x0
	v_add_nc_u64_e32 v[10:11], s[8:9], v[10:11]
	s_cbranch_vccz .LBB4_14
; %bb.11:                               ;   in Loop: Header=BB4_6 Depth=1
	s_and_not1_b32 vcc_lo, exec_lo, s4
	s_cbranch_vccnz .LBB4_5
	s_branch .LBB4_19
.LBB4_12:                               ;   in Loop: Header=BB4_6 Depth=1
	v_mov_b64_e32 v[16:17], 0
	v_mov_b64_e32 v[12:13], 0
	s_cbranch_execnz .LBB4_8
.LBB4_13:                               ;   in Loop: Header=BB4_6 Depth=1
	s_wait_xcnt 0x0
	s_lshl_b64 s[40:41], s[12:13], 3
	s_delay_alu instid0(SALU_CYCLE_1)
	s_add_nc_u64 s[40:41], s[14:15], s[40:41]
	global_load_b64 v[10:11], v3, s[40:41]
	s_wait_loadcnt 0x0
	v_add_nc_u64_e32 v[12:13], s[28:29], v[10:11]
	s_and_not1_b32 vcc_lo, exec_lo, s31
	s_cbranch_vccz .LBB4_9
	s_branch .LBB4_10
.LBB4_14:                               ;   in Loop: Header=BB4_6 Depth=1
	s_wait_xcnt 0x0
	s_and_saveexec_b32 s4, s36
	s_cbranch_execz .LBB4_18
; %bb.15:                               ;   in Loop: Header=BB4_6 Depth=1
	v_dual_mov_b32 v18, 0 :: v_dual_mov_b32 v19, 0
	s_delay_alu instid0(VALU_DEP_2)
	v_lshl_add_u64 v[14:15], v[4:5], 3, v[10:11]
	s_and_not1_b32 vcc_lo, exec_lo, s37
	s_cbranch_vccnz .LBB4_17
; %bb.16:                               ;   in Loop: Header=BB4_6 Depth=1
	flat_load_b64 v[18:19], v[14:15]
	v_mov_b64_e32 v[22:23], s[24:25]
	v_mov_b64_e32 v[24:25], s[22:23]
	s_wait_loadcnt_dscnt 0x0
	s_delay_alu instid0(VALU_DEP_2) | instskip(NEXT) | instid1(VALU_DEP_1)
	v_pk_mul_f32 v[22:23], v[22:23], v[18:19] op_sel:[0,1]
	v_pk_fma_f32 v[26:27], v[24:25], v[18:19], v[22:23] op_sel_hi:[1,0,1]
	v_pk_fma_f32 v[18:19], v[24:25], v[18:19], v[22:23] neg_lo:[0,0,1] neg_hi:[0,0,1]
	s_delay_alu instid0(VALU_DEP_2)
	v_mov_b32_e32 v19, v27
.LBB4_17:                               ;   in Loop: Header=BB4_6 Depth=1
	flat_store_b64 v[14:15], v[18:19]
.LBB4_18:                               ;   in Loop: Header=BB4_6 Depth=1
	s_wait_xcnt 0x0
	s_or_b32 exec_lo, exec_lo, s4
	s_cbranch_execnz .LBB4_5
.LBB4_19:                               ;   in Loop: Header=BB4_6 Depth=1
	v_mov_b32_e32 v15, 0
	s_delay_alu instid0(VALU_DEP_1)
	v_mov_b32_e32 v14, v15
	s_wait_xcnt 0x0
	s_and_saveexec_b32 s39, s0
	s_cbranch_execz .LBB4_27
; %bb.20:                               ;   in Loop: Header=BB4_6 Depth=1
	v_dual_mov_b32 v14, 0 :: v_dual_mov_b32 v22, v6
	v_add_nc_u64_e32 v[16:17], v[16:17], v[8:9]
	s_mov_b32 s40, 0
	s_delay_alu instid0(VALU_DEP_2)
	v_mov_b32_e32 v15, v14
	s_branch .LBB4_23
.LBB4_21:                               ;   in Loop: Header=BB4_23 Depth=2
	s_wait_xcnt 0x0
	s_or_b32 exec_lo, exec_lo, s42
	flat_load_b64 v[24:25], v[16:17]
	flat_load_b32 v26, v[18:19]
	s_wait_loadcnt_dscnt 0x101
	s_wait_xcnt 0x0
	v_pk_mul_f32 v[18:19], v[2:3], v[24:25] op_sel:[0,1] op_sel_hi:[0,0]
	s_wait_loadcnt_dscnt 0x0
	s_delay_alu instid0(VALU_DEP_1) | instskip(SKIP_1) | instid1(VALU_DEP_2)
	v_pk_fma_f32 v[28:29], v[26:27], v[24:25], v[18:19] op_sel_hi:[0,1,1]
	v_pk_fma_f32 v[18:19], v[26:27], v[24:25], v[18:19] neg_lo:[0,0,1] neg_hi:[0,0,1]
	v_mov_b32_e32 v19, v29
	s_delay_alu instid0(VALU_DEP_1)
	v_pk_add_f32 v[14:15], v[14:15], v[18:19]
.LBB4_22:                               ;   in Loop: Header=BB4_23 Depth=2
	s_or_b32 exec_lo, exec_lo, s41
	v_add_nc_u32_e32 v22, 16, v22
	v_add_nc_u64_e32 v[16:17], s[10:11], v[16:17]
	s_delay_alu instid0(VALU_DEP_2) | instskip(SKIP_1) | instid1(SALU_CYCLE_1)
	v_cmp_le_i32_e32 vcc_lo, s5, v22
	s_or_b32 s40, vcc_lo, s40
	s_and_not1_b32 exec_lo, exec_lo, s40
	s_cbranch_execz .LBB4_26
.LBB4_23:                               ;   Parent Loop BB4_6 Depth=1
                                        ; =>  This Inner Loop Header: Depth=2
	s_and_saveexec_b32 s41, s1
	s_cbranch_execz .LBB4_22
; %bb.24:                               ;   in Loop: Header=BB4_23 Depth=2
	v_cmp_le_i32_e32 vcc_lo, v21, v22
	v_cmp_ge_i32_e64 s4, v21, v22
	s_or_b32 s42, s38, vcc_lo
	s_or_b32 s4, s2, s4
	s_delay_alu instid0(SALU_CYCLE_1) | instskip(SKIP_2) | instid1(VALU_DEP_1)
	s_and_b32 vcc_lo, s42, s4
	s_mov_b32 s42, exec_lo
	v_dual_cndmask_b32 v23, v22, v21 :: v_dual_cndmask_b32 v18, v21, v22
	v_dual_sub_nc_u32 v2, s35, v18 :: v_dual_add_nc_u32 v19, 1, v18
	s_delay_alu instid0(VALU_DEP_1) | instskip(NEXT) | instid1(VALU_DEP_1)
	v_dual_cndmask_b32 v24, v2, v19, s2 :: v_dual_ashrrev_i32 v19, 31, v18
	v_ashrrev_i32_e32 v25, 31, v24
	s_delay_alu instid0(VALU_DEP_1) | instskip(NEXT) | instid1(VALU_DEP_1)
	v_mul_u64_e32 v[24:25], v[24:25], v[18:19]
	v_lshrrev_b32_e32 v2, 31, v25
	s_delay_alu instid0(VALU_DEP_1) | instskip(SKIP_1) | instid1(VALU_DEP_1)
	v_add_nc_u64_e32 v[24:25], v[24:25], v[2:3]
	v_cndmask_b32_e64 v2, v18, 0, s2
	v_dual_sub_nc_u32 v18, v23, v2 :: v_dual_mov_b32 v2, 0
	s_delay_alu instid0(VALU_DEP_3) | instskip(NEXT) | instid1(VALU_DEP_1)
	v_lshlrev_b64_e32 v[24:25], 2, v[24:25]
	v_dual_ashrrev_i32 v19, 31, v18 :: v_dual_bitop2_b32 v24, -8, v24 bitop3:0x40
	s_delay_alu instid0(VALU_DEP_1) | instskip(NEXT) | instid1(VALU_DEP_1)
	v_add_nc_u64_e32 v[24:25], v[12:13], v[24:25]
	v_lshl_add_u64 v[18:19], v[18:19], 3, v[24:25]
	v_cmpx_ne_u32_e64 v21, v22
	s_cbranch_execz .LBB4_21
; %bb.25:                               ;   in Loop: Header=BB4_23 Depth=2
	flat_load_b32 v2, v[18:19] offset:4
	s_wait_loadcnt_dscnt 0x0
	v_cndmask_b32_e64 v2, -v2, v2, vcc_lo
	s_branch .LBB4_21
.LBB4_26:                               ;   in Loop: Header=BB4_6 Depth=1
	s_or_b32 exec_lo, exec_lo, s40
.LBB4_27:                               ;   in Loop: Header=BB4_6 Depth=1
	s_delay_alu instid0(SALU_CYCLE_1)
	s_or_b32 exec_lo, exec_lo, s39
	ds_store_b64 v20, v[14:15]
	s_wait_storecnt_dscnt 0x0
	s_barrier_signal -1
	s_barrier_wait -1
	s_and_saveexec_b32 s4, s34
	s_cbranch_execz .LBB4_4
; %bb.28:                               ;   in Loop: Header=BB4_6 Depth=1
	ds_load_2addr_stride64_b64 v[12:15], v7 offset1:1
	ds_load_2addr_stride64_b64 v[16:19], v7 offset0:2 offset1:3
	ds_load_2addr_stride64_b64 v[22:25], v7 offset0:4 offset1:5
	s_wait_dscnt 0x2
	v_pk_add_f32 v[26:27], v[12:13], v[14:15]
	ds_load_2addr_stride64_b64 v[12:15], v7 offset0:6 offset1:7
	s_wait_dscnt 0x2
	v_pk_add_f32 v[16:17], v[26:27], v[16:17]
	s_delay_alu instid0(VALU_DEP_1) | instskip(SKIP_3) | instid1(VALU_DEP_1)
	v_pk_add_f32 v[26:27], v[16:17], v[18:19]
	ds_load_2addr_stride64_b64 v[16:19], v7 offset0:8 offset1:9
	s_wait_dscnt 0x2
	v_pk_add_f32 v[22:23], v[26:27], v[22:23]
	v_pk_add_f32 v[26:27], v[22:23], v[24:25]
	ds_load_2addr_stride64_b64 v[22:25], v7 offset0:10 offset1:11
	s_wait_dscnt 0x2
	v_pk_add_f32 v[12:13], v[26:27], v[12:13]
	s_delay_alu instid0(VALU_DEP_1) | instskip(SKIP_1) | instid1(VALU_DEP_1)
	v_pk_add_f32 v[12:13], v[12:13], v[14:15]
	s_wait_dscnt 0x1
	v_pk_add_f32 v[16:17], v[12:13], v[16:17]
	ds_load_2addr_stride64_b64 v[12:15], v7 offset0:12 offset1:13
	v_pk_add_f32 v[26:27], v[16:17], v[18:19]
	ds_load_2addr_stride64_b64 v[16:19], v7 offset0:14 offset1:15
	s_wait_dscnt 0x2
	v_pk_add_f32 v[22:23], v[26:27], v[22:23]
	ds_store_b64 v7, v[26:27]
	ds_store_b64 v7, v[22:23]
	v_pk_add_f32 v[24:25], v[22:23], v[24:25]
	s_wait_dscnt 0x3
	s_delay_alu instid0(VALU_DEP_1) | instskip(NEXT) | instid1(VALU_DEP_1)
	v_pk_add_f32 v[12:13], v[24:25], v[12:13]
	v_pk_add_f32 v[28:29], v[12:13], v[14:15]
	s_wait_dscnt 0x2
	s_delay_alu instid0(VALU_DEP_1) | instskip(NEXT) | instid1(VALU_DEP_1)
	v_pk_add_f32 v[16:17], v[28:29], v[16:17]
	v_pk_add_f32 v[14:15], v[16:17], v[18:19]
	ds_store_b64 v7, v[24:25]
	ds_store_b64 v7, v[12:13]
	;; [unrolled: 1-line block ×5, first 2 shown]
	s_and_b32 exec_lo, exec_lo, s3
	s_cbranch_execz .LBB4_4
; %bb.29:                               ;   in Loop: Header=BB4_6 Depth=1
	v_mov_b64_e32 v[12:13], s[26:27]
	v_mov_b64_e32 v[16:17], s[20:21]
	v_lshl_add_u64 v[10:11], v[0:1], 3, v[10:11]
	s_and_not1_b32 vcc_lo, exec_lo, s37
	s_delay_alu instid0(VALU_DEP_3) | instskip(NEXT) | instid1(VALU_DEP_1)
	v_pk_mul_f32 v[18:19], v[14:15], v[12:13] op_sel:[1,0]
	v_pk_fma_f32 v[12:13], v[14:15], v[16:17], v[18:19] op_sel_hi:[0,1,1] neg_lo:[0,0,1] neg_hi:[0,0,1]
	v_pk_fma_f32 v[14:15], v[14:15], v[16:17], v[18:19] op_sel_hi:[0,1,1]
	s_cbranch_vccnz .LBB4_3
; %bb.30:                               ;   in Loop: Header=BB4_6 Depth=1
	flat_load_b64 v[16:17], v[10:11]
	v_mov_b64_e32 v[18:19], s[24:25]
	v_mov_b64_e32 v[22:23], s[22:23]
	s_wait_loadcnt_dscnt 0x0
	s_delay_alu instid0(VALU_DEP_2) | instskip(NEXT) | instid1(VALU_DEP_1)
	v_pk_mul_f32 v[18:19], v[18:19], v[16:17] op_sel:[0,1]
	v_pk_fma_f32 v[24:25], v[22:23], v[16:17], v[18:19] op_sel_hi:[1,0,1]
	v_mov_b32_e32 v13, v15
	v_pk_fma_f32 v[14:15], v[22:23], v[16:17], v[18:19] neg_lo:[0,0,1] neg_hi:[0,0,1]
	s_delay_alu instid0(VALU_DEP_3) | instskip(NEXT) | instid1(VALU_DEP_1)
	v_mov_b32_e32 v15, v25
	v_pk_add_f32 v[12:13], v[12:13], v[14:15]
	s_delay_alu instid0(VALU_DEP_1)
	v_mov_b32_e32 v15, v13
	s_branch .LBB4_3
.LBB4_31:
	s_endpgm
	.section	.rodata,"a",@progbits
	.p2align	6, 0x0
	.amdhsa_kernel _ZL19rocblas_hpmv_kernelILi64ELi16EPK19rocblas_complex_numIfEPKS3_PKPS1_EvbiT1_T2_llSA_lllS9_T3_llli
		.amdhsa_group_segment_fixed_size 8192
		.amdhsa_private_segment_fixed_size 0
		.amdhsa_kernarg_size 116
		.amdhsa_user_sgpr_count 2
		.amdhsa_user_sgpr_dispatch_ptr 0
		.amdhsa_user_sgpr_queue_ptr 0
		.amdhsa_user_sgpr_kernarg_segment_ptr 1
		.amdhsa_user_sgpr_dispatch_id 0
		.amdhsa_user_sgpr_kernarg_preload_length 0
		.amdhsa_user_sgpr_kernarg_preload_offset 0
		.amdhsa_user_sgpr_private_segment_size 0
		.amdhsa_wavefront_size32 1
		.amdhsa_uses_dynamic_stack 0
		.amdhsa_enable_private_segment 0
		.amdhsa_system_sgpr_workgroup_id_x 1
		.amdhsa_system_sgpr_workgroup_id_y 0
		.amdhsa_system_sgpr_workgroup_id_z 1
		.amdhsa_system_sgpr_workgroup_info 0
		.amdhsa_system_vgpr_workitem_id 1
		.amdhsa_next_free_vgpr 30
		.amdhsa_next_free_sgpr 43
		.amdhsa_named_barrier_count 0
		.amdhsa_reserve_vcc 1
		.amdhsa_float_round_mode_32 0
		.amdhsa_float_round_mode_16_64 0
		.amdhsa_float_denorm_mode_32 3
		.amdhsa_float_denorm_mode_16_64 3
		.amdhsa_fp16_overflow 0
		.amdhsa_memory_ordered 1
		.amdhsa_forward_progress 1
		.amdhsa_inst_pref_size 14
		.amdhsa_round_robin_scheduling 0
		.amdhsa_exception_fp_ieee_invalid_op 0
		.amdhsa_exception_fp_denorm_src 0
		.amdhsa_exception_fp_ieee_div_zero 0
		.amdhsa_exception_fp_ieee_overflow 0
		.amdhsa_exception_fp_ieee_underflow 0
		.amdhsa_exception_fp_ieee_inexact 0
		.amdhsa_exception_int_div_zero 0
	.end_amdhsa_kernel
	.section	.text._ZL19rocblas_hpmv_kernelILi64ELi16EPK19rocblas_complex_numIfEPKS3_PKPS1_EvbiT1_T2_llSA_lllS9_T3_llli,"axG",@progbits,_ZL19rocblas_hpmv_kernelILi64ELi16EPK19rocblas_complex_numIfEPKS3_PKPS1_EvbiT1_T2_llSA_lllS9_T3_llli,comdat
.Lfunc_end4:
	.size	_ZL19rocblas_hpmv_kernelILi64ELi16EPK19rocblas_complex_numIfEPKS3_PKPS1_EvbiT1_T2_llSA_lllS9_T3_llli, .Lfunc_end4-_ZL19rocblas_hpmv_kernelILi64ELi16EPK19rocblas_complex_numIfEPKS3_PKPS1_EvbiT1_T2_llSA_lllS9_T3_llli
                                        ; -- End function
	.set _ZL19rocblas_hpmv_kernelILi64ELi16EPK19rocblas_complex_numIfEPKS3_PKPS1_EvbiT1_T2_llSA_lllS9_T3_llli.num_vgpr, 30
	.set _ZL19rocblas_hpmv_kernelILi64ELi16EPK19rocblas_complex_numIfEPKS3_PKPS1_EvbiT1_T2_llSA_lllS9_T3_llli.num_agpr, 0
	.set _ZL19rocblas_hpmv_kernelILi64ELi16EPK19rocblas_complex_numIfEPKS3_PKPS1_EvbiT1_T2_llSA_lllS9_T3_llli.numbered_sgpr, 43
	.set _ZL19rocblas_hpmv_kernelILi64ELi16EPK19rocblas_complex_numIfEPKS3_PKPS1_EvbiT1_T2_llSA_lllS9_T3_llli.num_named_barrier, 0
	.set _ZL19rocblas_hpmv_kernelILi64ELi16EPK19rocblas_complex_numIfEPKS3_PKPS1_EvbiT1_T2_llSA_lllS9_T3_llli.private_seg_size, 0
	.set _ZL19rocblas_hpmv_kernelILi64ELi16EPK19rocblas_complex_numIfEPKS3_PKPS1_EvbiT1_T2_llSA_lllS9_T3_llli.uses_vcc, 1
	.set _ZL19rocblas_hpmv_kernelILi64ELi16EPK19rocblas_complex_numIfEPKS3_PKPS1_EvbiT1_T2_llSA_lllS9_T3_llli.uses_flat_scratch, 0
	.set _ZL19rocblas_hpmv_kernelILi64ELi16EPK19rocblas_complex_numIfEPKS3_PKPS1_EvbiT1_T2_llSA_lllS9_T3_llli.has_dyn_sized_stack, 0
	.set _ZL19rocblas_hpmv_kernelILi64ELi16EPK19rocblas_complex_numIfEPKS3_PKPS1_EvbiT1_T2_llSA_lllS9_T3_llli.has_recursion, 0
	.set _ZL19rocblas_hpmv_kernelILi64ELi16EPK19rocblas_complex_numIfEPKS3_PKPS1_EvbiT1_T2_llSA_lllS9_T3_llli.has_indirect_call, 0
	.section	.AMDGPU.csdata,"",@progbits
; Kernel info:
; codeLenInByte = 1736
; TotalNumSgprs: 45
; NumVgprs: 30
; ScratchSize: 0
; MemoryBound: 0
; FloatMode: 240
; IeeeMode: 1
; LDSByteSize: 8192 bytes/workgroup (compile time only)
; SGPRBlocks: 0
; VGPRBlocks: 1
; NumSGPRsForWavesPerEU: 45
; NumVGPRsForWavesPerEU: 30
; NamedBarCnt: 0
; Occupancy: 16
; WaveLimiterHint : 1
; COMPUTE_PGM_RSRC2:SCRATCH_EN: 0
; COMPUTE_PGM_RSRC2:USER_SGPR: 2
; COMPUTE_PGM_RSRC2:TRAP_HANDLER: 0
; COMPUTE_PGM_RSRC2:TGID_X_EN: 1
; COMPUTE_PGM_RSRC2:TGID_Y_EN: 0
; COMPUTE_PGM_RSRC2:TGID_Z_EN: 1
; COMPUTE_PGM_RSRC2:TIDIG_COMP_CNT: 1
	.section	.text._ZL19rocblas_hpmv_kernelILi64ELi16E19rocblas_complex_numIfEPKPKS1_PKPS1_EvbiT1_T2_llSA_lllS9_T3_llli,"axG",@progbits,_ZL19rocblas_hpmv_kernelILi64ELi16E19rocblas_complex_numIfEPKPKS1_PKPS1_EvbiT1_T2_llSA_lllS9_T3_llli,comdat
	.globl	_ZL19rocblas_hpmv_kernelILi64ELi16E19rocblas_complex_numIfEPKPKS1_PKPS1_EvbiT1_T2_llSA_lllS9_T3_llli ; -- Begin function _ZL19rocblas_hpmv_kernelILi64ELi16E19rocblas_complex_numIfEPKPKS1_PKPS1_EvbiT1_T2_llSA_lllS9_T3_llli
	.p2align	8
	.type	_ZL19rocblas_hpmv_kernelILi64ELi16E19rocblas_complex_numIfEPKPKS1_PKPS1_EvbiT1_T2_llSA_lllS9_T3_llli,@function
_ZL19rocblas_hpmv_kernelILi64ELi16E19rocblas_complex_numIfEPKPKS1_PKPS1_EvbiT1_T2_llSA_lllS9_T3_llli: ; @_ZL19rocblas_hpmv_kernelILi64ELi16E19rocblas_complex_numIfEPKPKS1_PKPS1_EvbiT1_T2_llSA_lllS9_T3_llli
; %bb.0:
	s_clause 0x1
	s_load_b128 s[4:7], s[0:1], 0x0
	s_load_b64 s[20:21], s[0:1], 0x48
	s_wait_kmcnt 0x0
	s_cmp_eq_f32 s6, 0
	s_cselect_b32 s2, -1, 0
	s_cmp_eq_f32 s7, 0
	s_cselect_b32 s3, -1, 0
	s_delay_alu instid0(SALU_CYCLE_1) | instskip(SKIP_4) | instid1(SALU_CYCLE_1)
	s_and_b32 s2, s2, s3
	s_cmp_eq_f32 s20, 1.0
	s_cselect_b32 s3, -1, 0
	s_cmp_eq_f32 s21, 0
	s_cselect_b32 s8, -1, 0
	s_and_b32 s3, s3, s8
	s_delay_alu instid0(SALU_CYCLE_1) | instskip(NEXT) | instid1(SALU_CYCLE_1)
	s_and_b32 s2, s2, s3
	s_and_b32 vcc_lo, exec_lo, s2
	s_cbranch_vccnz .LBB5_31
; %bb.1:
	s_load_b32 s30, s[0:1], 0x70
	s_bfe_u32 s2, ttmp6, 0x40014
	s_lshr_b32 s8, ttmp7, 16
	s_add_co_i32 s2, s2, 1
	s_bfe_u32 s9, ttmp6, 0x40008
	s_mul_i32 s2, s8, s2
	s_getreg_b32 s3, hwreg(HW_REG_IB_STS2, 6, 4)
	s_add_co_i32 s9, s9, s2
	s_cmp_eq_u32 s3, 0
	s_cselect_b32 s22, s8, s9
	s_wait_kmcnt 0x0
	s_cmp_ge_u32 s22, s30
	s_cbranch_scc1 .LBB5_31
; %bb.2:
	s_bitcmp1_b32 s4, 0
	s_clause 0x1
	s_load_b64 s[28:29], s[0:1], 0x60
	s_load_b64 s[34:35], s[0:1], 0x38
	s_cselect_b32 s2, -1, 0
	s_or_b32 s4, s6, s7
	v_bfe_u32 v10, v0, 10, 10
	s_bitset0_b32 s4, 31
	v_and_b32_e32 v1, 0x3ff, v0
	s_cmp_lg_u32 s4, 0
	s_mov_b32 s38, s5
	s_cselect_b32 s31, -1, 0
	s_cmp_eq_u32 s4, 0
	v_lshl_add_u32 v11, v10, 6, v1
	s_cselect_b32 s33, -1, 0
	s_bfe_u32 s4, ttmp6, 0x4000c
	s_and_b32 s8, ttmp6, 15
	s_add_co_i32 s4, s4, 1
	v_cmp_gt_u32_e32 vcc_lo, 64, v11
	s_mul_i32 s4, ttmp9, s4
	s_mov_b32 s23, 0
	s_add_co_i32 s8, s8, s4
	s_cmp_eq_u32 s3, 0
	s_mov_b32 s24, s21
	s_cselect_b32 s3, ttmp9, s8
	s_clause 0x2
	s_load_b128 s[8:11], s[0:1], 0x10
	s_load_b128 s[12:15], s[0:1], 0x28
	;; [unrolled: 1-line block ×3, first 2 shown]
	v_add_nc_u32_e32 v2, s3, v10
	s_cmp_neq_f32 s20, 0
	s_mov_b32 s25, s20
	s_mov_b32 s26, s7
	;; [unrolled: 1-line block ×3, first 2 shown]
	v_lshl_add_u32 v2, v2, 6, v1
	v_lshrrev_b32_e32 v6, 6, v11
	s_cselect_b32 s4, -1, 0
	s_cmp_neq_f32 s21, 0
	s_delay_alu instid0(VALU_DEP_2)
	v_dual_ashrrev_i32 v3, 31, v2 :: v_dual_bitop2_b32 v12, 63, v0 bitop3:0x40
	s_wait_xcnt 0x0
	v_cmp_gt_i32_e64 s0, s5, v6
	s_cselect_b32 s37, -1, 0
	s_lshl_b32 s36, s5, 1
	s_ashr_i32 s39, s5, 31
	s_wait_kmcnt 0x0
	v_mul_u64_e32 v[4:5], s[28:29], v[2:3]
	v_mov_b32_e32 v3, 0
	s_lshl_b64 s[10:11], s[10:11], 3
	s_or_b32 s37, s4, s37
	s_lshl_b64 s[14:15], s[14:15], 3
	s_lshl_b64 s[18:19], s[18:19], 3
	v_mov_b32_e32 v7, v3
	v_lshl_or_b32 v20, s3, 6, v12
	v_cmp_gt_i32_e64 s3, s5, v2
	v_lshlrev_b32_e32 v10, 9, v10
	v_and_or_b32 v13, 0x1ffc0, v11, v12
	v_mul_u64_e32 v[8:9], s[34:35], v[6:7]
	v_lshlrev_b32_e32 v7, 3, v1
	v_mul_u64_e32 v[0:1], s[28:29], v[2:3]
	v_cmp_gt_i32_e64 s1, s5, v20
	s_lshl_b64 s[28:29], s[34:35], 7
	s_or_b32 s35, s36, 1
	v_dual_add_nc_u32 v7, v7, v10 :: v_dual_lshlrev_b32 v21, 3, v13
	s_and_b32 s34, vcc_lo, s1
	s_delay_alu instid0(SALU_CYCLE_1)
	s_and_b32 s36, s34, s3
	v_cmp_gt_i64_e64 s3, s[38:39], v[2:3]
	s_xor_b32 s38, s2, -1
	v_lshlrev_b64_e32 v[8:9], 3, v[8:9]
	s_branch .LBB5_6
.LBB5_3:                                ;   in Loop: Header=BB5_6 Depth=1
	s_delay_alu instid0(VALU_DEP_1)
	v_mov_b32_e32 v13, v15
	flat_store_b64 v[10:11], v[12:13]
.LBB5_4:                                ;   in Loop: Header=BB5_6 Depth=1
	s_wait_xcnt 0x0
	s_or_b32 exec_lo, exec_lo, s4
.LBB5_5:                                ;   in Loop: Header=BB5_6 Depth=1
	s_add_co_i32 s22, s22, 0x10000
	s_delay_alu instid0(SALU_CYCLE_1)
	s_cmp_lt_u32 s22, s30
	s_cbranch_scc0 .LBB5_31
.LBB5_6:                                ; =>This Loop Header: Depth=1
                                        ;     Child Loop BB5_23 Depth 2
	s_and_not1_b32 vcc_lo, exec_lo, s33
	s_mov_b32 s4, -1
	s_cbranch_vccz .LBB5_12
; %bb.7:                                ;   in Loop: Header=BB5_6 Depth=1
	v_mov_b64_e32 v[16:17], 0
	v_mov_b64_e32 v[12:13], 0
	s_and_not1_b32 vcc_lo, exec_lo, s4
	s_cbranch_vccz .LBB5_13
.LBB5_8:                                ;   in Loop: Header=BB5_6 Depth=1
	s_and_not1_b32 vcc_lo, exec_lo, s31
	s_cbranch_vccnz .LBB5_10
.LBB5_9:                                ;   in Loop: Header=BB5_6 Depth=1
	s_wait_xcnt 0x0
	s_lshl_b64 s[40:41], s[22:23], 3
	s_delay_alu instid0(SALU_CYCLE_1)
	s_add_nc_u64 s[40:41], s[12:13], s[40:41]
	global_load_b64 v[10:11], v3, s[40:41]
	s_wait_loadcnt 0x0
	v_add_nc_u64_e32 v[16:17], s[14:15], v[10:11]
.LBB5_10:                               ;   in Loop: Header=BB5_6 Depth=1
	s_wait_xcnt 0x0
	s_lshl_b64 s[40:41], s[22:23], 3
	s_and_not1_b32 vcc_lo, exec_lo, s33
	s_add_nc_u64 s[40:41], s[16:17], s[40:41]
	s_mov_b32 s4, -1
	global_load_b64 v[10:11], v3, s[40:41]
	s_wait_loadcnt 0x0
	v_add_nc_u64_e32 v[10:11], s[18:19], v[10:11]
	s_cbranch_vccz .LBB5_14
; %bb.11:                               ;   in Loop: Header=BB5_6 Depth=1
	s_and_not1_b32 vcc_lo, exec_lo, s4
	s_cbranch_vccnz .LBB5_5
	s_branch .LBB5_19
.LBB5_12:                               ;   in Loop: Header=BB5_6 Depth=1
	v_mov_b64_e32 v[16:17], 0
	v_mov_b64_e32 v[12:13], 0
	s_cbranch_execnz .LBB5_8
.LBB5_13:                               ;   in Loop: Header=BB5_6 Depth=1
	s_wait_xcnt 0x0
	s_lshl_b64 s[40:41], s[22:23], 3
	s_delay_alu instid0(SALU_CYCLE_1)
	s_add_nc_u64 s[40:41], s[8:9], s[40:41]
	global_load_b64 v[10:11], v3, s[40:41]
	s_wait_loadcnt 0x0
	v_add_nc_u64_e32 v[12:13], s[10:11], v[10:11]
	s_and_not1_b32 vcc_lo, exec_lo, s31
	s_cbranch_vccz .LBB5_9
	s_branch .LBB5_10
.LBB5_14:                               ;   in Loop: Header=BB5_6 Depth=1
	s_wait_xcnt 0x0
	s_and_saveexec_b32 s4, s36
	s_cbranch_execz .LBB5_18
; %bb.15:                               ;   in Loop: Header=BB5_6 Depth=1
	v_dual_mov_b32 v18, 0 :: v_dual_mov_b32 v19, 0
	s_delay_alu instid0(VALU_DEP_2)
	v_lshl_add_u64 v[14:15], v[4:5], 3, v[10:11]
	s_and_not1_b32 vcc_lo, exec_lo, s37
	s_cbranch_vccnz .LBB5_17
; %bb.16:                               ;   in Loop: Header=BB5_6 Depth=1
	flat_load_b64 v[18:19], v[14:15]
	v_mov_b64_e32 v[22:23], s[24:25]
	v_mov_b64_e32 v[24:25], s[20:21]
	s_wait_loadcnt_dscnt 0x0
	s_delay_alu instid0(VALU_DEP_2) | instskip(NEXT) | instid1(VALU_DEP_1)
	v_pk_mul_f32 v[22:23], v[22:23], v[18:19] op_sel:[0,1]
	v_pk_fma_f32 v[26:27], v[24:25], v[18:19], v[22:23] op_sel_hi:[1,0,1]
	v_pk_fma_f32 v[18:19], v[24:25], v[18:19], v[22:23] neg_lo:[0,0,1] neg_hi:[0,0,1]
	s_delay_alu instid0(VALU_DEP_2)
	v_mov_b32_e32 v19, v27
.LBB5_17:                               ;   in Loop: Header=BB5_6 Depth=1
	flat_store_b64 v[14:15], v[18:19]
.LBB5_18:                               ;   in Loop: Header=BB5_6 Depth=1
	s_wait_xcnt 0x0
	s_or_b32 exec_lo, exec_lo, s4
	s_cbranch_execnz .LBB5_5
.LBB5_19:                               ;   in Loop: Header=BB5_6 Depth=1
	v_mov_b32_e32 v15, 0
	s_delay_alu instid0(VALU_DEP_1)
	v_mov_b32_e32 v14, v15
	s_wait_xcnt 0x0
	s_and_saveexec_b32 s39, s0
	s_cbranch_execz .LBB5_27
; %bb.20:                               ;   in Loop: Header=BB5_6 Depth=1
	v_dual_mov_b32 v14, 0 :: v_dual_mov_b32 v22, v6
	v_add_nc_u64_e32 v[16:17], v[16:17], v[8:9]
	s_mov_b32 s40, 0
	s_delay_alu instid0(VALU_DEP_2)
	v_mov_b32_e32 v15, v14
	s_branch .LBB5_23
.LBB5_21:                               ;   in Loop: Header=BB5_23 Depth=2
	s_wait_xcnt 0x0
	s_or_b32 exec_lo, exec_lo, s42
	flat_load_b64 v[24:25], v[16:17]
	flat_load_b32 v26, v[18:19]
	s_wait_loadcnt_dscnt 0x101
	s_wait_xcnt 0x0
	v_pk_mul_f32 v[18:19], v[2:3], v[24:25] op_sel:[0,1] op_sel_hi:[0,0]
	s_wait_loadcnt_dscnt 0x0
	s_delay_alu instid0(VALU_DEP_1) | instskip(SKIP_1) | instid1(VALU_DEP_2)
	v_pk_fma_f32 v[28:29], v[26:27], v[24:25], v[18:19] op_sel_hi:[0,1,1]
	v_pk_fma_f32 v[18:19], v[26:27], v[24:25], v[18:19] neg_lo:[0,0,1] neg_hi:[0,0,1]
	v_mov_b32_e32 v19, v29
	s_delay_alu instid0(VALU_DEP_1)
	v_pk_add_f32 v[14:15], v[14:15], v[18:19]
.LBB5_22:                               ;   in Loop: Header=BB5_23 Depth=2
	s_or_b32 exec_lo, exec_lo, s41
	v_add_nc_u32_e32 v22, 16, v22
	v_add_nc_u64_e32 v[16:17], s[28:29], v[16:17]
	s_delay_alu instid0(VALU_DEP_2) | instskip(SKIP_1) | instid1(SALU_CYCLE_1)
	v_cmp_le_i32_e32 vcc_lo, s5, v22
	s_or_b32 s40, vcc_lo, s40
	s_and_not1_b32 exec_lo, exec_lo, s40
	s_cbranch_execz .LBB5_26
.LBB5_23:                               ;   Parent Loop BB5_6 Depth=1
                                        ; =>  This Inner Loop Header: Depth=2
	s_and_saveexec_b32 s41, s1
	s_cbranch_execz .LBB5_22
; %bb.24:                               ;   in Loop: Header=BB5_23 Depth=2
	v_cmp_le_i32_e32 vcc_lo, v20, v22
	v_cmp_ge_i32_e64 s4, v20, v22
	s_or_b32 s42, s38, vcc_lo
	s_or_b32 s4, s2, s4
	s_delay_alu instid0(SALU_CYCLE_1) | instskip(SKIP_2) | instid1(VALU_DEP_1)
	s_and_b32 vcc_lo, s42, s4
	s_mov_b32 s42, exec_lo
	v_dual_cndmask_b32 v23, v22, v20 :: v_dual_cndmask_b32 v18, v20, v22
	v_dual_sub_nc_u32 v2, s35, v18 :: v_dual_add_nc_u32 v19, 1, v18
	s_delay_alu instid0(VALU_DEP_1) | instskip(NEXT) | instid1(VALU_DEP_1)
	v_dual_cndmask_b32 v24, v2, v19, s2 :: v_dual_ashrrev_i32 v19, 31, v18
	v_ashrrev_i32_e32 v25, 31, v24
	s_delay_alu instid0(VALU_DEP_1) | instskip(NEXT) | instid1(VALU_DEP_1)
	v_mul_u64_e32 v[24:25], v[24:25], v[18:19]
	v_lshrrev_b32_e32 v2, 31, v25
	s_delay_alu instid0(VALU_DEP_1) | instskip(SKIP_1) | instid1(VALU_DEP_1)
	v_add_nc_u64_e32 v[24:25], v[24:25], v[2:3]
	v_cndmask_b32_e64 v2, v18, 0, s2
	v_dual_sub_nc_u32 v18, v23, v2 :: v_dual_mov_b32 v2, 0
	s_delay_alu instid0(VALU_DEP_3) | instskip(NEXT) | instid1(VALU_DEP_1)
	v_lshlrev_b64_e32 v[24:25], 2, v[24:25]
	v_dual_ashrrev_i32 v19, 31, v18 :: v_dual_bitop2_b32 v24, -8, v24 bitop3:0x40
	s_delay_alu instid0(VALU_DEP_1) | instskip(NEXT) | instid1(VALU_DEP_1)
	v_add_nc_u64_e32 v[24:25], v[12:13], v[24:25]
	v_lshl_add_u64 v[18:19], v[18:19], 3, v[24:25]
	v_cmpx_ne_u32_e64 v20, v22
	s_cbranch_execz .LBB5_21
; %bb.25:                               ;   in Loop: Header=BB5_23 Depth=2
	flat_load_b32 v2, v[18:19] offset:4
	s_wait_loadcnt_dscnt 0x0
	v_cndmask_b32_e64 v2, -v2, v2, vcc_lo
	s_branch .LBB5_21
.LBB5_26:                               ;   in Loop: Header=BB5_6 Depth=1
	s_or_b32 exec_lo, exec_lo, s40
.LBB5_27:                               ;   in Loop: Header=BB5_6 Depth=1
	s_delay_alu instid0(SALU_CYCLE_1)
	s_or_b32 exec_lo, exec_lo, s39
	ds_store_b64 v21, v[14:15]
	s_wait_storecnt_dscnt 0x0
	s_barrier_signal -1
	s_barrier_wait -1
	s_and_saveexec_b32 s4, s34
	s_cbranch_execz .LBB5_4
; %bb.28:                               ;   in Loop: Header=BB5_6 Depth=1
	ds_load_2addr_stride64_b64 v[12:15], v7 offset1:1
	ds_load_2addr_stride64_b64 v[16:19], v7 offset0:2 offset1:3
	ds_load_2addr_stride64_b64 v[22:25], v7 offset0:4 offset1:5
	s_wait_dscnt 0x2
	v_pk_add_f32 v[26:27], v[12:13], v[14:15]
	ds_load_2addr_stride64_b64 v[12:15], v7 offset0:6 offset1:7
	s_wait_dscnt 0x2
	v_pk_add_f32 v[16:17], v[26:27], v[16:17]
	s_delay_alu instid0(VALU_DEP_1) | instskip(SKIP_3) | instid1(VALU_DEP_1)
	v_pk_add_f32 v[26:27], v[16:17], v[18:19]
	ds_load_2addr_stride64_b64 v[16:19], v7 offset0:8 offset1:9
	s_wait_dscnt 0x2
	v_pk_add_f32 v[22:23], v[26:27], v[22:23]
	v_pk_add_f32 v[26:27], v[22:23], v[24:25]
	ds_load_2addr_stride64_b64 v[22:25], v7 offset0:10 offset1:11
	s_wait_dscnt 0x2
	v_pk_add_f32 v[12:13], v[26:27], v[12:13]
	s_delay_alu instid0(VALU_DEP_1) | instskip(SKIP_1) | instid1(VALU_DEP_1)
	v_pk_add_f32 v[12:13], v[12:13], v[14:15]
	s_wait_dscnt 0x1
	v_pk_add_f32 v[16:17], v[12:13], v[16:17]
	ds_load_2addr_stride64_b64 v[12:15], v7 offset0:12 offset1:13
	v_pk_add_f32 v[26:27], v[16:17], v[18:19]
	ds_load_2addr_stride64_b64 v[16:19], v7 offset0:14 offset1:15
	s_wait_dscnt 0x2
	v_pk_add_f32 v[22:23], v[26:27], v[22:23]
	ds_store_b64 v7, v[26:27]
	ds_store_b64 v7, v[22:23]
	v_pk_add_f32 v[24:25], v[22:23], v[24:25]
	s_wait_dscnt 0x3
	s_delay_alu instid0(VALU_DEP_1) | instskip(NEXT) | instid1(VALU_DEP_1)
	v_pk_add_f32 v[12:13], v[24:25], v[12:13]
	v_pk_add_f32 v[28:29], v[12:13], v[14:15]
	s_wait_dscnt 0x2
	s_delay_alu instid0(VALU_DEP_1) | instskip(NEXT) | instid1(VALU_DEP_1)
	v_pk_add_f32 v[16:17], v[28:29], v[16:17]
	v_pk_add_f32 v[14:15], v[16:17], v[18:19]
	ds_store_b64 v7, v[24:25]
	ds_store_b64 v7, v[12:13]
	;; [unrolled: 1-line block ×5, first 2 shown]
	s_and_b32 exec_lo, exec_lo, s3
	s_cbranch_execz .LBB5_4
; %bb.29:                               ;   in Loop: Header=BB5_6 Depth=1
	v_mov_b64_e32 v[12:13], s[26:27]
	v_mov_b64_e32 v[16:17], s[6:7]
	v_lshl_add_u64 v[10:11], v[0:1], 3, v[10:11]
	s_and_not1_b32 vcc_lo, exec_lo, s37
	s_delay_alu instid0(VALU_DEP_3) | instskip(NEXT) | instid1(VALU_DEP_1)
	v_pk_mul_f32 v[18:19], v[14:15], v[12:13] op_sel:[1,0]
	v_pk_fma_f32 v[12:13], v[14:15], v[16:17], v[18:19] op_sel_hi:[0,1,1] neg_lo:[0,0,1] neg_hi:[0,0,1]
	v_pk_fma_f32 v[14:15], v[14:15], v[16:17], v[18:19] op_sel_hi:[0,1,1]
	s_cbranch_vccnz .LBB5_3
; %bb.30:                               ;   in Loop: Header=BB5_6 Depth=1
	flat_load_b64 v[16:17], v[10:11]
	v_mov_b64_e32 v[18:19], s[24:25]
	v_mov_b64_e32 v[22:23], s[20:21]
	s_wait_loadcnt_dscnt 0x0
	s_delay_alu instid0(VALU_DEP_2) | instskip(NEXT) | instid1(VALU_DEP_1)
	v_pk_mul_f32 v[18:19], v[18:19], v[16:17] op_sel:[0,1]
	v_pk_fma_f32 v[24:25], v[22:23], v[16:17], v[18:19] op_sel_hi:[1,0,1]
	v_mov_b32_e32 v13, v15
	v_pk_fma_f32 v[14:15], v[22:23], v[16:17], v[18:19] neg_lo:[0,0,1] neg_hi:[0,0,1]
	s_delay_alu instid0(VALU_DEP_3) | instskip(NEXT) | instid1(VALU_DEP_1)
	v_mov_b32_e32 v15, v25
	v_pk_add_f32 v[12:13], v[12:13], v[14:15]
	s_delay_alu instid0(VALU_DEP_1)
	v_mov_b32_e32 v15, v13
	s_branch .LBB5_3
.LBB5_31:
	s_endpgm
	.section	.rodata,"a",@progbits
	.p2align	6, 0x0
	.amdhsa_kernel _ZL19rocblas_hpmv_kernelILi64ELi16E19rocblas_complex_numIfEPKPKS1_PKPS1_EvbiT1_T2_llSA_lllS9_T3_llli
		.amdhsa_group_segment_fixed_size 8192
		.amdhsa_private_segment_fixed_size 0
		.amdhsa_kernarg_size 116
		.amdhsa_user_sgpr_count 2
		.amdhsa_user_sgpr_dispatch_ptr 0
		.amdhsa_user_sgpr_queue_ptr 0
		.amdhsa_user_sgpr_kernarg_segment_ptr 1
		.amdhsa_user_sgpr_dispatch_id 0
		.amdhsa_user_sgpr_kernarg_preload_length 0
		.amdhsa_user_sgpr_kernarg_preload_offset 0
		.amdhsa_user_sgpr_private_segment_size 0
		.amdhsa_wavefront_size32 1
		.amdhsa_uses_dynamic_stack 0
		.amdhsa_enable_private_segment 0
		.amdhsa_system_sgpr_workgroup_id_x 1
		.amdhsa_system_sgpr_workgroup_id_y 0
		.amdhsa_system_sgpr_workgroup_id_z 1
		.amdhsa_system_sgpr_workgroup_info 0
		.amdhsa_system_vgpr_workitem_id 1
		.amdhsa_next_free_vgpr 30
		.amdhsa_next_free_sgpr 43
		.amdhsa_named_barrier_count 0
		.amdhsa_reserve_vcc 1
		.amdhsa_float_round_mode_32 0
		.amdhsa_float_round_mode_16_64 0
		.amdhsa_float_denorm_mode_32 3
		.amdhsa_float_denorm_mode_16_64 3
		.amdhsa_fp16_overflow 0
		.amdhsa_memory_ordered 1
		.amdhsa_forward_progress 1
		.amdhsa_inst_pref_size 14
		.amdhsa_round_robin_scheduling 0
		.amdhsa_exception_fp_ieee_invalid_op 0
		.amdhsa_exception_fp_denorm_src 0
		.amdhsa_exception_fp_ieee_div_zero 0
		.amdhsa_exception_fp_ieee_overflow 0
		.amdhsa_exception_fp_ieee_underflow 0
		.amdhsa_exception_fp_ieee_inexact 0
		.amdhsa_exception_int_div_zero 0
	.end_amdhsa_kernel
	.section	.text._ZL19rocblas_hpmv_kernelILi64ELi16E19rocblas_complex_numIfEPKPKS1_PKPS1_EvbiT1_T2_llSA_lllS9_T3_llli,"axG",@progbits,_ZL19rocblas_hpmv_kernelILi64ELi16E19rocblas_complex_numIfEPKPKS1_PKPS1_EvbiT1_T2_llSA_lllS9_T3_llli,comdat
.Lfunc_end5:
	.size	_ZL19rocblas_hpmv_kernelILi64ELi16E19rocblas_complex_numIfEPKPKS1_PKPS1_EvbiT1_T2_llSA_lllS9_T3_llli, .Lfunc_end5-_ZL19rocblas_hpmv_kernelILi64ELi16E19rocblas_complex_numIfEPKPKS1_PKPS1_EvbiT1_T2_llSA_lllS9_T3_llli
                                        ; -- End function
	.set _ZL19rocblas_hpmv_kernelILi64ELi16E19rocblas_complex_numIfEPKPKS1_PKPS1_EvbiT1_T2_llSA_lllS9_T3_llli.num_vgpr, 30
	.set _ZL19rocblas_hpmv_kernelILi64ELi16E19rocblas_complex_numIfEPKPKS1_PKPS1_EvbiT1_T2_llSA_lllS9_T3_llli.num_agpr, 0
	.set _ZL19rocblas_hpmv_kernelILi64ELi16E19rocblas_complex_numIfEPKPKS1_PKPS1_EvbiT1_T2_llSA_lllS9_T3_llli.numbered_sgpr, 43
	.set _ZL19rocblas_hpmv_kernelILi64ELi16E19rocblas_complex_numIfEPKPKS1_PKPS1_EvbiT1_T2_llSA_lllS9_T3_llli.num_named_barrier, 0
	.set _ZL19rocblas_hpmv_kernelILi64ELi16E19rocblas_complex_numIfEPKPKS1_PKPS1_EvbiT1_T2_llSA_lllS9_T3_llli.private_seg_size, 0
	.set _ZL19rocblas_hpmv_kernelILi64ELi16E19rocblas_complex_numIfEPKPKS1_PKPS1_EvbiT1_T2_llSA_lllS9_T3_llli.uses_vcc, 1
	.set _ZL19rocblas_hpmv_kernelILi64ELi16E19rocblas_complex_numIfEPKPKS1_PKPS1_EvbiT1_T2_llSA_lllS9_T3_llli.uses_flat_scratch, 0
	.set _ZL19rocblas_hpmv_kernelILi64ELi16E19rocblas_complex_numIfEPKPKS1_PKPS1_EvbiT1_T2_llSA_lllS9_T3_llli.has_dyn_sized_stack, 0
	.set _ZL19rocblas_hpmv_kernelILi64ELi16E19rocblas_complex_numIfEPKPKS1_PKPS1_EvbiT1_T2_llSA_lllS9_T3_llli.has_recursion, 0
	.set _ZL19rocblas_hpmv_kernelILi64ELi16E19rocblas_complex_numIfEPKPKS1_PKPS1_EvbiT1_T2_llSA_lllS9_T3_llli.has_indirect_call, 0
	.section	.AMDGPU.csdata,"",@progbits
; Kernel info:
; codeLenInByte = 1724
; TotalNumSgprs: 45
; NumVgprs: 30
; ScratchSize: 0
; MemoryBound: 0
; FloatMode: 240
; IeeeMode: 1
; LDSByteSize: 8192 bytes/workgroup (compile time only)
; SGPRBlocks: 0
; VGPRBlocks: 1
; NumSGPRsForWavesPerEU: 45
; NumVGPRsForWavesPerEU: 30
; NamedBarCnt: 0
; Occupancy: 16
; WaveLimiterHint : 1
; COMPUTE_PGM_RSRC2:SCRATCH_EN: 0
; COMPUTE_PGM_RSRC2:USER_SGPR: 2
; COMPUTE_PGM_RSRC2:TRAP_HANDLER: 0
; COMPUTE_PGM_RSRC2:TGID_X_EN: 1
; COMPUTE_PGM_RSRC2:TGID_Y_EN: 0
; COMPUTE_PGM_RSRC2:TGID_Z_EN: 1
; COMPUTE_PGM_RSRC2:TIDIG_COMP_CNT: 1
	.section	.text._ZL19rocblas_hpmv_kernelILi64ELi16EPK19rocblas_complex_numIdEPKS3_PKPS1_EvbiT1_T2_llSA_lllS9_T3_llli,"axG",@progbits,_ZL19rocblas_hpmv_kernelILi64ELi16EPK19rocblas_complex_numIdEPKS3_PKPS1_EvbiT1_T2_llSA_lllS9_T3_llli,comdat
	.globl	_ZL19rocblas_hpmv_kernelILi64ELi16EPK19rocblas_complex_numIdEPKS3_PKPS1_EvbiT1_T2_llSA_lllS9_T3_llli ; -- Begin function _ZL19rocblas_hpmv_kernelILi64ELi16EPK19rocblas_complex_numIdEPKS3_PKPS1_EvbiT1_T2_llSA_lllS9_T3_llli
	.p2align	8
	.type	_ZL19rocblas_hpmv_kernelILi64ELi16EPK19rocblas_complex_numIdEPKS3_PKPS1_EvbiT1_T2_llSA_lllS9_T3_llli,@function
_ZL19rocblas_hpmv_kernelILi64ELi16EPK19rocblas_complex_numIdEPKS3_PKPS1_EvbiT1_T2_llSA_lllS9_T3_llli: ; @_ZL19rocblas_hpmv_kernelILi64ELi16EPK19rocblas_complex_numIdEPKS3_PKPS1_EvbiT1_T2_llSA_lllS9_T3_llli
; %bb.0:
	s_load_b128 s[12:15], s[0:1], 0x8
	s_wait_kmcnt 0x0
	s_load_b128 s[16:19], s[12:13], 0x0
	s_load_b256 s[4:11], s[0:1], 0x48
	s_wait_kmcnt 0x0
	v_cmp_neq_f64_e64 s2, s[16:17], 0
	v_cmp_neq_f64_e64 s3, s[18:19], 0
	s_load_b128 s[20:23], s[4:5], 0x0
	s_or_b32 s30, s2, s3
	s_mov_b32 s2, -1
	s_and_b32 vcc_lo, exec_lo, s30
	s_cbranch_vccnz .LBB6_2
; %bb.1:
	s_wait_kmcnt 0x0
	v_cmp_neq_f64_e64 s2, s[20:21], 1.0
	v_cmp_neq_f64_e64 s3, s[22:23], 0
	s_or_b32 s2, s2, s3
.LBB6_2:
	s_delay_alu instid0(SALU_CYCLE_1)
	s_and_not1_b32 vcc_lo, exec_lo, s2
	s_cbranch_vccnz .LBB6_36
; %bb.3:
	s_load_b32 s31, s[0:1], 0x70
	s_bfe_u32 s2, ttmp6, 0x40014
	s_wait_xcnt 0x0
	s_lshr_b32 s4, ttmp7, 16
	s_add_co_i32 s2, s2, 1
	s_bfe_u32 s5, ttmp6, 0x40008
	s_mul_i32 s2, s4, s2
	s_getreg_b32 s3, hwreg(HW_REG_IB_STS2, 6, 4)
	s_add_co_i32 s5, s5, s2
	s_cmp_eq_u32 s3, 0
	s_mov_b32 s13, 0
	s_cselect_b32 s12, s4, s5
	s_wait_kmcnt 0x0
	s_cmp_ge_u32 s12, s31
	s_cbranch_scc1 .LBB6_36
; %bb.4:
	s_clause 0x2
	s_load_b64 s[4:5], s[0:1], 0x0
	s_load_b64 s[28:29], s[0:1], 0x38
	;; [unrolled: 1-line block ×3, first 2 shown]
	s_xor_b32 s33, s30, -1
	v_bfe_u32 v1, v0, 10, 10
	v_and_b32_e32 v4, 0x3ff, v0
	v_cmp_neq_f64_e64 s37, s[22:23], 0
	v_and_b32_e32 v0, 63, v0
	s_delay_alu instid0(VALU_DEP_3) | instskip(NEXT) | instid1(VALU_DEP_1)
	v_lshl_add_u32 v5, v1, 6, v4
	v_lshrrev_b32_e32 v12, 6, v5
	v_cmp_gt_u32_e32 vcc_lo, 64, v5
	s_delay_alu instid0(VALU_DEP_4)
	v_and_or_b32 v6, 0x1ffc0, v5, v0
	s_wait_kmcnt 0x0
	s_bitcmp1_b32 s4, 0
	s_mov_b32 s38, s5
	s_cselect_b32 s2, -1, 0
	s_bfe_u32 s4, ttmp6, 0x4000c
	s_and_b32 s24, ttmp6, 15
	s_add_co_i32 s4, s4, 1
	v_lshlrev_b32_e32 v24, 4, v6
	s_mul_i32 s4, ttmp9, s4
	s_delay_alu instid0(SALU_CYCLE_1)
	s_add_co_i32 s24, s24, s4
	s_cmp_eq_u32 s3, 0
	v_cmp_neq_f64_e64 s4, s[20:21], 0
	s_cselect_b32 s3, ttmp9, s24
	s_load_b128 s[24:27], s[0:1], 0x28
	v_add_nc_u32_e32 v2, s3, v1
	v_lshl_or_b32 v25, s3, 6, v0
	v_lshlrev_b32_e32 v1, 10, v1
	s_lshl_b32 s36, s5, 1
	s_ashr_i32 s39, s5, 31
	v_lshl_add_u32 v8, v2, 6, v4
	s_wait_xcnt 0x0
	v_cmp_gt_i32_e64 s1, s5, v25
	v_lshlrev_b32_e32 v4, 4, v4
	v_cmp_gt_i32_e64 s0, s5, v12
	s_lshl_b64 s[8:9], s[8:9], 4
	v_ashrrev_i32_e32 v9, 31, v8
	v_cmp_gt_i32_e64 s3, s5, v8
	s_delay_alu instid0(VALU_DEP_2) | instskip(SKIP_3) | instid1(VALU_DEP_1)
	v_mul_u64_e32 v[10:11], s[10:11], v[8:9]
	v_mov_b32_e32 v9, 0
	s_wait_kmcnt 0x0
	s_lshl_b64 s[26:27], s[26:27], 4
	v_mov_b32_e32 v13, v9
	v_mul_u64_e32 v[14:15], s[10:11], v[8:9]
	s_lshl_b64 s[10:11], s[28:29], 8
	s_delay_alu instid0(VALU_DEP_2)
	v_mul_u64_e32 v[2:3], s[28:29], v[12:13]
	s_lshl_b64 s[28:29], s[34:35], 4
	s_or_b32 s35, s36, 1
	v_add_nc_u32_e32 v13, v4, v1
	s_or_b32 s37, s4, s37
	s_and_b32 s34, vcc_lo, s1
	s_delay_alu instid0(SALU_CYCLE_1) | instskip(SKIP_3) | instid1(VALU_DEP_1)
	s_and_b32 s36, s34, s3
	v_cmp_gt_i64_e64 s3, s[38:39], v[8:9]
	s_xor_b32 s38, s2, -1
	v_lshlrev_b64_e32 v[16:17], 4, v[2:3]
	v_or_b32_e32 v16, 8, v16
	s_branch .LBB6_6
.LBB6_5:                                ;   in Loop: Header=BB6_6 Depth=1
	s_wait_xcnt 0x0
	s_or_b32 exec_lo, exec_lo, s4
	s_add_co_i32 s12, s12, 0x10000
	s_delay_alu instid0(SALU_CYCLE_1)
	s_cmp_lt_u32 s12, s31
	s_cbranch_scc0 .LBB6_36
.LBB6_6:                                ; =>This Loop Header: Depth=1
                                        ;     Child Loop BB6_22 Depth 2
	s_and_not1_b32 vcc_lo, exec_lo, s33
	s_mov_b32 s4, -1
	s_cbranch_vccz .LBB6_15
; %bb.7:                                ;   in Loop: Header=BB6_6 Depth=1
	v_mov_b64_e32 v[6:7], 0
	v_mov_b64_e32 v[4:5], 0
	s_and_not1_b32 vcc_lo, exec_lo, s4
	s_cbranch_vccz .LBB6_16
.LBB6_8:                                ;   in Loop: Header=BB6_6 Depth=1
	s_and_not1_b32 vcc_lo, exec_lo, s30
	s_cbranch_vccnz .LBB6_10
.LBB6_9:                                ;   in Loop: Header=BB6_6 Depth=1
	s_wait_xcnt 0x0
	s_lshl_b64 s[40:41], s[12:13], 3
	s_delay_alu instid0(SALU_CYCLE_1)
	s_add_nc_u64 s[40:41], s[24:25], s[40:41]
	global_load_b64 v[0:1], v9, s[40:41]
	s_wait_loadcnt 0x0
	v_add_nc_u64_e32 v[6:7], s[26:27], v[0:1]
.LBB6_10:                               ;   in Loop: Header=BB6_6 Depth=1
	s_wait_xcnt 0x0
	s_lshl_b64 s[40:41], s[12:13], 3
	s_and_not1_b32 vcc_lo, exec_lo, s33
	s_add_nc_u64 s[40:41], s[6:7], s[40:41]
	global_load_b64 v[0:1], v9, s[40:41]
	s_wait_loadcnt 0x0
	v_add_nc_u64_e32 v[18:19], s[8:9], v[0:1]
	s_cbranch_vccnz .LBB6_17
; %bb.11:                               ;   in Loop: Header=BB6_6 Depth=1
	s_mov_b32 s4, 0
	s_mov_b32 s39, 0
                                        ; implicit-def: $vgpr2_vgpr3
	s_wait_xcnt 0x0
	s_and_saveexec_b32 s40, s36
	s_cbranch_execz .LBB6_25
; %bb.12:                               ;   in Loop: Header=BB6_6 Depth=1
	v_mov_b64_e32 v[2:3], 0
	v_mov_b64_e32 v[0:1], 0
	s_and_not1_b32 vcc_lo, exec_lo, s37
	s_cbranch_vccnz .LBB6_14
; %bb.13:                               ;   in Loop: Header=BB6_6 Depth=1
	v_lshl_add_u64 v[0:1], v[10:11], 4, v[18:19]
	flat_load_b128 v[20:23], v[0:1]
	s_wait_loadcnt_dscnt 0x0
	s_wait_xcnt 0x0
	v_mul_f64_e32 v[0:1], s[22:23], v[22:23]
	v_mul_f64_e32 v[2:3], s[20:21], v[22:23]
	s_delay_alu instid0(VALU_DEP_2) | instskip(NEXT) | instid1(VALU_DEP_2)
	v_fma_f64 v[0:1], s[20:21], v[20:21], -v[0:1]
	v_fmac_f64_e32 v[2:3], s[22:23], v[20:21]
.LBB6_14:                               ;   in Loop: Header=BB6_6 Depth=1
	s_mov_b32 s39, exec_lo
	s_or_b32 exec_lo, exec_lo, s40
	s_delay_alu instid0(SALU_CYCLE_1)
	s_and_b32 vcc_lo, exec_lo, s4
	s_cbranch_vccnz .LBB6_18
	s_branch .LBB6_26
.LBB6_15:                               ;   in Loop: Header=BB6_6 Depth=1
	v_mov_b64_e32 v[6:7], 0
	v_mov_b64_e32 v[4:5], 0
	s_cbranch_execnz .LBB6_8
.LBB6_16:                               ;   in Loop: Header=BB6_6 Depth=1
	s_lshl_b64 s[40:41], s[12:13], 3
	s_delay_alu instid0(SALU_CYCLE_1)
	s_add_nc_u64 s[40:41], s[14:15], s[40:41]
	global_load_b64 v[0:1], v9, s[40:41]
	s_wait_loadcnt 0x0
	v_add_nc_u64_e32 v[4:5], s[28:29], v[0:1]
	s_and_not1_b32 vcc_lo, exec_lo, s30
	s_cbranch_vccz .LBB6_9
	s_branch .LBB6_10
.LBB6_17:                               ;   in Loop: Header=BB6_6 Depth=1
	s_mov_b32 s39, 0
                                        ; implicit-def: $vgpr2_vgpr3
	s_cbranch_execz .LBB6_26
.LBB6_18:                               ;   in Loop: Header=BB6_6 Depth=1
	v_mov_b64_e32 v[2:3], 0
	v_mov_b64_e32 v[0:1], 0
	s_wait_xcnt 0x0
	s_and_saveexec_b32 s40, s0
	s_cbranch_execz .LBB6_28
; %bb.19:                               ;   in Loop: Header=BB6_6 Depth=1
	v_mov_b64_e32 v[2:3], 0
	v_add_nc_u64_e32 v[6:7], v[6:7], v[16:17]
	v_mov_b32_e32 v26, v12
	s_mov_b32 s41, 0
	s_delay_alu instid0(VALU_DEP_3)
	v_mov_b64_e32 v[0:1], v[2:3]
	s_branch .LBB6_22
.LBB6_20:                               ;   in Loop: Header=BB6_22 Depth=2
	s_wait_xcnt 0x0
	s_or_b32 exec_lo, exec_lo, s43
	flat_load_b128 v[28:31], v[6:7] offset:-8
	flat_load_b64 v[32:33], v[22:23]
	s_wait_loadcnt_dscnt 0x101
	s_wait_xcnt 0x0
	v_mul_f64_e32 v[22:23], v[20:21], v[30:31]
	s_wait_loadcnt_dscnt 0x0
	v_mul_f64_e32 v[30:31], v[32:33], v[30:31]
	s_delay_alu instid0(VALU_DEP_2) | instskip(NEXT) | instid1(VALU_DEP_2)
	v_fma_f64 v[22:23], v[32:33], v[28:29], -v[22:23]
	v_fmac_f64_e32 v[30:31], v[20:21], v[28:29]
	s_delay_alu instid0(VALU_DEP_2) | instskip(NEXT) | instid1(VALU_DEP_2)
	v_add_f64_e32 v[0:1], v[0:1], v[22:23]
	v_add_f64_e32 v[2:3], v[2:3], v[30:31]
.LBB6_21:                               ;   in Loop: Header=BB6_22 Depth=2
	s_or_b32 exec_lo, exec_lo, s42
	v_add_nc_u32_e32 v26, 16, v26
	v_add_nc_u64_e32 v[6:7], s[10:11], v[6:7]
	s_delay_alu instid0(VALU_DEP_2) | instskip(SKIP_1) | instid1(SALU_CYCLE_1)
	v_cmp_le_i32_e32 vcc_lo, s5, v26
	s_or_b32 s41, vcc_lo, s41
	s_and_not1_b32 exec_lo, exec_lo, s41
	s_cbranch_execz .LBB6_27
.LBB6_22:                               ;   Parent Loop BB6_6 Depth=1
                                        ; =>  This Inner Loop Header: Depth=2
	s_and_saveexec_b32 s42, s1
	s_cbranch_execz .LBB6_21
; %bb.23:                               ;   in Loop: Header=BB6_22 Depth=2
	v_cmp_le_i32_e32 vcc_lo, v25, v26
	v_cmp_ge_i32_e64 s4, v25, v26
	s_or_b32 s43, s38, vcc_lo
	s_or_b32 s4, s2, s4
	s_delay_alu instid0(SALU_CYCLE_1) | instskip(SKIP_2) | instid1(VALU_DEP_1)
	s_and_b32 vcc_lo, s43, s4
	s_mov_b32 s43, exec_lo
	v_dual_cndmask_b32 v27, v26, v25 :: v_dual_cndmask_b32 v20, v25, v26
	v_dual_sub_nc_u32 v8, s35, v20 :: v_dual_add_nc_u32 v21, 1, v20
	s_delay_alu instid0(VALU_DEP_1) | instskip(NEXT) | instid1(VALU_DEP_1)
	v_dual_cndmask_b32 v22, v8, v21, s2 :: v_dual_ashrrev_i32 v21, 31, v20
	v_ashrrev_i32_e32 v23, 31, v22
	s_delay_alu instid0(VALU_DEP_1) | instskip(NEXT) | instid1(VALU_DEP_1)
	v_mul_u64_e32 v[22:23], v[22:23], v[20:21]
	v_lshrrev_b32_e32 v8, 31, v23
	s_delay_alu instid0(VALU_DEP_1) | instskip(SKIP_2) | instid1(VALU_DEP_2)
	v_add_nc_u64_e32 v[22:23], v[22:23], v[8:9]
	v_cndmask_b32_e64 v8, v20, 0, s2
	v_mov_b64_e32 v[20:21], 0
	v_sub_nc_u32_e32 v28, v27, v8
	s_delay_alu instid0(VALU_DEP_4) | instskip(NEXT) | instid1(VALU_DEP_1)
	v_lshlrev_b64_e32 v[22:23], 3, v[22:23]
	v_dual_ashrrev_i32 v29, 31, v28 :: v_dual_bitop2_b32 v22, -16, v22 bitop3:0x40
	s_delay_alu instid0(VALU_DEP_1) | instskip(NEXT) | instid1(VALU_DEP_1)
	v_add_nc_u64_e32 v[22:23], v[4:5], v[22:23]
	v_lshl_add_u64 v[22:23], v[28:29], 4, v[22:23]
	v_cmpx_ne_u32_e64 v25, v26
	s_cbranch_execz .LBB6_20
; %bb.24:                               ;   in Loop: Header=BB6_22 Depth=2
	flat_load_b64 v[20:21], v[22:23] offset:8
	s_wait_loadcnt_dscnt 0x0
	v_xor_b32_e32 v8, 0x80000000, v21
	s_delay_alu instid0(VALU_DEP_1)
	v_cndmask_b32_e32 v21, v8, v21, vcc_lo
	s_branch .LBB6_20
.LBB6_25:                               ;   in Loop: Header=BB6_6 Depth=1
	s_or_b32 exec_lo, exec_lo, s40
	s_delay_alu instid0(SALU_CYCLE_1)
	s_and_b32 vcc_lo, exec_lo, s4
	s_cbranch_vccnz .LBB6_18
.LBB6_26:                               ;   in Loop: Header=BB6_6 Depth=1
	v_mov_b64_e32 v[4:5], v[10:11]
	s_wait_xcnt 0x0
	s_and_saveexec_b32 s4, s39
	s_cbranch_execz .LBB6_5
	s_branch .LBB6_35
.LBB6_27:                               ;   in Loop: Header=BB6_6 Depth=1
	s_or_b32 exec_lo, exec_lo, s41
.LBB6_28:                               ;   in Loop: Header=BB6_6 Depth=1
	s_delay_alu instid0(SALU_CYCLE_1)
	s_or_b32 exec_lo, exec_lo, s40
	ds_store_b128 v24, v[0:3]
	s_wait_dscnt 0x0
	s_barrier_signal -1
	s_barrier_wait -1
                                        ; implicit-def: $vgpr2_vgpr3
	s_and_saveexec_b32 s4, s34
	s_cbranch_execz .LBB6_34
; %bb.29:                               ;   in Loop: Header=BB6_6 Depth=1
	ds_load_b128 v[0:3], v13
	ds_load_b128 v[4:7], v13 offset:1024
	s_mov_b32 s41, s39
	s_wait_dscnt 0x0
	v_add_f64_e32 v[20:21], v[0:1], v[4:5]
	v_add_f64_e32 v[22:23], v[2:3], v[6:7]
	ds_load_b128 v[0:3], v13 offset:2048
	ds_load_b128 v[4:7], v13 offset:3072
	s_wait_dscnt 0x1
	v_add_f64_e32 v[0:1], v[20:21], v[0:1]
	v_add_f64_e32 v[2:3], v[22:23], v[2:3]
	s_wait_dscnt 0x0
	s_delay_alu instid0(VALU_DEP_2) | instskip(NEXT) | instid1(VALU_DEP_2)
	v_add_f64_e32 v[20:21], v[0:1], v[4:5]
	v_add_f64_e32 v[22:23], v[2:3], v[6:7]
	ds_load_b128 v[0:3], v13 offset:4096
	ds_load_b128 v[4:7], v13 offset:5120
	s_wait_dscnt 0x1
	v_add_f64_e32 v[0:1], v[20:21], v[0:1]
	v_add_f64_e32 v[2:3], v[22:23], v[2:3]
	s_wait_dscnt 0x0
	s_delay_alu instid0(VALU_DEP_2) | instskip(NEXT) | instid1(VALU_DEP_2)
	;; [unrolled: 9-line block ×4, first 2 shown]
	v_add_f64_e32 v[0:1], v[0:1], v[4:5]
	v_add_f64_e32 v[2:3], v[2:3], v[6:7]
	ds_load_b128 v[4:7], v13 offset:10240
	ds_load_b128 v[20:23], v13 offset:11264
	s_wait_dscnt 0x1
	v_add_f64_e32 v[26:27], v[0:1], v[4:5]
	v_add_f64_e32 v[28:29], v[2:3], v[6:7]
	ds_load_b128 v[4:7], v13 offset:12288
	ds_load_b128 v[30:33], v13 offset:13312
	s_wait_dscnt 0x2
	v_add_f64_e32 v[20:21], v[26:27], v[20:21]
	v_add_f64_e32 v[22:23], v[28:29], v[22:23]
	s_wait_dscnt 0x1
	s_delay_alu instid0(VALU_DEP_2) | instskip(NEXT) | instid1(VALU_DEP_2)
	v_add_f64_e32 v[34:35], v[20:21], v[4:5]
	v_add_f64_e32 v[36:37], v[22:23], v[6:7]
	ds_load_b128 v[4:7], v13 offset:14336
	ds_load_b128 v[38:41], v13 offset:15360
	s_wait_dscnt 0x2
	v_add_f64_e32 v[30:31], v[34:35], v[30:31]
	v_add_f64_e32 v[32:33], v[36:37], v[32:33]
	s_wait_dscnt 0x1
	s_delay_alu instid0(VALU_DEP_2) | instskip(NEXT) | instid1(VALU_DEP_2)
	v_add_f64_e32 v[42:43], v[30:31], v[4:5]
	v_add_f64_e32 v[44:45], v[32:33], v[6:7]
	ds_store_b128 v13, v[0:3]
	ds_store_b128 v13, v[26:29]
	;; [unrolled: 1-line block ×6, first 2 shown]
                                        ; implicit-def: $vgpr2_vgpr3
	s_wait_dscnt 0x6
	v_add_f64_e32 v[4:5], v[42:43], v[38:39]
	v_add_f64_e32 v[6:7], v[44:45], v[40:41]
	ds_store_b128 v13, v[4:7]
	s_and_saveexec_b32 s40, s3
	s_cbranch_execz .LBB6_33
; %bb.30:                               ;   in Loop: Header=BB6_6 Depth=1
	v_mul_f64_e32 v[0:1], s[18:19], v[6:7]
	v_mul_f64_e32 v[2:3], s[16:17], v[6:7]
	s_and_not1_b32 vcc_lo, exec_lo, s37
	s_delay_alu instid0(VALU_DEP_2) | instskip(NEXT) | instid1(VALU_DEP_2)
	v_fma_f64 v[0:1], s[16:17], v[4:5], -v[0:1]
	v_fmac_f64_e32 v[2:3], s[18:19], v[4:5]
	s_cbranch_vccnz .LBB6_32
; %bb.31:                               ;   in Loop: Header=BB6_6 Depth=1
	v_lshl_add_u64 v[4:5], v[14:15], 4, v[18:19]
	flat_load_b128 v[4:7], v[4:5]
	s_wait_loadcnt_dscnt 0x0
	v_mul_f64_e32 v[20:21], s[22:23], v[6:7]
	v_mul_f64_e32 v[6:7], s[20:21], v[6:7]
	s_delay_alu instid0(VALU_DEP_2) | instskip(NEXT) | instid1(VALU_DEP_2)
	v_fma_f64 v[20:21], s[20:21], v[4:5], -v[20:21]
	v_fmac_f64_e32 v[6:7], s[22:23], v[4:5]
	s_delay_alu instid0(VALU_DEP_2) | instskip(NEXT) | instid1(VALU_DEP_2)
	v_add_f64_e32 v[0:1], v[0:1], v[20:21]
	v_add_f64_e32 v[2:3], v[2:3], v[6:7]
.LBB6_32:                               ;   in Loop: Header=BB6_6 Depth=1
	s_or_b32 s41, s39, exec_lo
.LBB6_33:                               ;   in Loop: Header=BB6_6 Depth=1
	s_wait_xcnt 0x0
	s_or_b32 exec_lo, exec_lo, s40
	s_delay_alu instid0(SALU_CYCLE_1) | instskip(SKIP_1) | instid1(SALU_CYCLE_1)
	s_and_not1_b32 s39, s39, exec_lo
	s_and_b32 s40, s41, exec_lo
	s_or_b32 s39, s39, s40
.LBB6_34:                               ;   in Loop: Header=BB6_6 Depth=1
	s_or_b32 exec_lo, exec_lo, s4
	v_mov_b64_e32 v[4:5], v[14:15]
	s_and_saveexec_b32 s4, s39
	s_cbranch_execz .LBB6_5
.LBB6_35:                               ;   in Loop: Header=BB6_6 Depth=1
	s_delay_alu instid0(VALU_DEP_1)
	v_lshl_add_u64 v[4:5], v[4:5], 4, v[18:19]
	flat_store_b128 v[4:5], v[0:3]
	s_branch .LBB6_5
.LBB6_36:
	s_endpgm
	.section	.rodata,"a",@progbits
	.p2align	6, 0x0
	.amdhsa_kernel _ZL19rocblas_hpmv_kernelILi64ELi16EPK19rocblas_complex_numIdEPKS3_PKPS1_EvbiT1_T2_llSA_lllS9_T3_llli
		.amdhsa_group_segment_fixed_size 16384
		.amdhsa_private_segment_fixed_size 0
		.amdhsa_kernarg_size 116
		.amdhsa_user_sgpr_count 2
		.amdhsa_user_sgpr_dispatch_ptr 0
		.amdhsa_user_sgpr_queue_ptr 0
		.amdhsa_user_sgpr_kernarg_segment_ptr 1
		.amdhsa_user_sgpr_dispatch_id 0
		.amdhsa_user_sgpr_kernarg_preload_length 0
		.amdhsa_user_sgpr_kernarg_preload_offset 0
		.amdhsa_user_sgpr_private_segment_size 0
		.amdhsa_wavefront_size32 1
		.amdhsa_uses_dynamic_stack 0
		.amdhsa_enable_private_segment 0
		.amdhsa_system_sgpr_workgroup_id_x 1
		.amdhsa_system_sgpr_workgroup_id_y 0
		.amdhsa_system_sgpr_workgroup_id_z 1
		.amdhsa_system_sgpr_workgroup_info 0
		.amdhsa_system_vgpr_workitem_id 1
		.amdhsa_next_free_vgpr 46
		.amdhsa_next_free_sgpr 44
		.amdhsa_named_barrier_count 0
		.amdhsa_reserve_vcc 1
		.amdhsa_float_round_mode_32 0
		.amdhsa_float_round_mode_16_64 0
		.amdhsa_float_denorm_mode_32 3
		.amdhsa_float_denorm_mode_16_64 3
		.amdhsa_fp16_overflow 0
		.amdhsa_memory_ordered 1
		.amdhsa_forward_progress 1
		.amdhsa_inst_pref_size 15
		.amdhsa_round_robin_scheduling 0
		.amdhsa_exception_fp_ieee_invalid_op 0
		.amdhsa_exception_fp_denorm_src 0
		.amdhsa_exception_fp_ieee_div_zero 0
		.amdhsa_exception_fp_ieee_overflow 0
		.amdhsa_exception_fp_ieee_underflow 0
		.amdhsa_exception_fp_ieee_inexact 0
		.amdhsa_exception_int_div_zero 0
	.end_amdhsa_kernel
	.section	.text._ZL19rocblas_hpmv_kernelILi64ELi16EPK19rocblas_complex_numIdEPKS3_PKPS1_EvbiT1_T2_llSA_lllS9_T3_llli,"axG",@progbits,_ZL19rocblas_hpmv_kernelILi64ELi16EPK19rocblas_complex_numIdEPKS3_PKPS1_EvbiT1_T2_llSA_lllS9_T3_llli,comdat
.Lfunc_end6:
	.size	_ZL19rocblas_hpmv_kernelILi64ELi16EPK19rocblas_complex_numIdEPKS3_PKPS1_EvbiT1_T2_llSA_lllS9_T3_llli, .Lfunc_end6-_ZL19rocblas_hpmv_kernelILi64ELi16EPK19rocblas_complex_numIdEPKS3_PKPS1_EvbiT1_T2_llSA_lllS9_T3_llli
                                        ; -- End function
	.set _ZL19rocblas_hpmv_kernelILi64ELi16EPK19rocblas_complex_numIdEPKS3_PKPS1_EvbiT1_T2_llSA_lllS9_T3_llli.num_vgpr, 46
	.set _ZL19rocblas_hpmv_kernelILi64ELi16EPK19rocblas_complex_numIdEPKS3_PKPS1_EvbiT1_T2_llSA_lllS9_T3_llli.num_agpr, 0
	.set _ZL19rocblas_hpmv_kernelILi64ELi16EPK19rocblas_complex_numIdEPKS3_PKPS1_EvbiT1_T2_llSA_lllS9_T3_llli.numbered_sgpr, 44
	.set _ZL19rocblas_hpmv_kernelILi64ELi16EPK19rocblas_complex_numIdEPKS3_PKPS1_EvbiT1_T2_llSA_lllS9_T3_llli.num_named_barrier, 0
	.set _ZL19rocblas_hpmv_kernelILi64ELi16EPK19rocblas_complex_numIdEPKS3_PKPS1_EvbiT1_T2_llSA_lllS9_T3_llli.private_seg_size, 0
	.set _ZL19rocblas_hpmv_kernelILi64ELi16EPK19rocblas_complex_numIdEPKS3_PKPS1_EvbiT1_T2_llSA_lllS9_T3_llli.uses_vcc, 1
	.set _ZL19rocblas_hpmv_kernelILi64ELi16EPK19rocblas_complex_numIdEPKS3_PKPS1_EvbiT1_T2_llSA_lllS9_T3_llli.uses_flat_scratch, 0
	.set _ZL19rocblas_hpmv_kernelILi64ELi16EPK19rocblas_complex_numIdEPKS3_PKPS1_EvbiT1_T2_llSA_lllS9_T3_llli.has_dyn_sized_stack, 0
	.set _ZL19rocblas_hpmv_kernelILi64ELi16EPK19rocblas_complex_numIdEPKS3_PKPS1_EvbiT1_T2_llSA_lllS9_T3_llli.has_recursion, 0
	.set _ZL19rocblas_hpmv_kernelILi64ELi16EPK19rocblas_complex_numIdEPKS3_PKPS1_EvbiT1_T2_llSA_lllS9_T3_llli.has_indirect_call, 0
	.section	.AMDGPU.csdata,"",@progbits
; Kernel info:
; codeLenInByte = 1832
; TotalNumSgprs: 46
; NumVgprs: 46
; ScratchSize: 0
; MemoryBound: 0
; FloatMode: 240
; IeeeMode: 1
; LDSByteSize: 16384 bytes/workgroup (compile time only)
; SGPRBlocks: 0
; VGPRBlocks: 2
; NumSGPRsForWavesPerEU: 46
; NumVGPRsForWavesPerEU: 46
; NamedBarCnt: 0
; Occupancy: 16
; WaveLimiterHint : 1
; COMPUTE_PGM_RSRC2:SCRATCH_EN: 0
; COMPUTE_PGM_RSRC2:USER_SGPR: 2
; COMPUTE_PGM_RSRC2:TRAP_HANDLER: 0
; COMPUTE_PGM_RSRC2:TGID_X_EN: 1
; COMPUTE_PGM_RSRC2:TGID_Y_EN: 0
; COMPUTE_PGM_RSRC2:TGID_Z_EN: 1
; COMPUTE_PGM_RSRC2:TIDIG_COMP_CNT: 1
	.section	.text._ZL19rocblas_hpmv_kernelILi64ELi16E19rocblas_complex_numIdEPKPKS1_PKPS1_EvbiT1_T2_llSA_lllS9_T3_llli,"axG",@progbits,_ZL19rocblas_hpmv_kernelILi64ELi16E19rocblas_complex_numIdEPKPKS1_PKPS1_EvbiT1_T2_llSA_lllS9_T3_llli,comdat
	.globl	_ZL19rocblas_hpmv_kernelILi64ELi16E19rocblas_complex_numIdEPKPKS1_PKPS1_EvbiT1_T2_llSA_lllS9_T3_llli ; -- Begin function _ZL19rocblas_hpmv_kernelILi64ELi16E19rocblas_complex_numIdEPKPKS1_PKPS1_EvbiT1_T2_llSA_lllS9_T3_llli
	.p2align	8
	.type	_ZL19rocblas_hpmv_kernelILi64ELi16E19rocblas_complex_numIdEPKPKS1_PKPS1_EvbiT1_T2_llSA_lllS9_T3_llli,@function
_ZL19rocblas_hpmv_kernelILi64ELi16E19rocblas_complex_numIdEPKPKS1_PKPS1_EvbiT1_T2_llSA_lllS9_T3_llli: ; @_ZL19rocblas_hpmv_kernelILi64ELi16E19rocblas_complex_numIdEPKPKS1_PKPS1_EvbiT1_T2_llSA_lllS9_T3_llli
; %bb.0:
	s_clause 0x1
	s_load_b256 s[8:15], s[0:1], 0x8
	s_load_b256 s[16:23], s[0:1], 0x50
	s_wait_kmcnt 0x0
	v_cmp_neq_f64_e64 s2, s[8:9], 0
	v_cmp_neq_f64_e64 s3, s[10:11], 0
	s_or_b32 s30, s2, s3
	s_mov_b32 s2, -1
	s_and_b32 vcc_lo, exec_lo, s30
	s_cbranch_vccnz .LBB7_2
; %bb.1:
	v_cmp_neq_f64_e64 s2, s[16:17], 1.0
	v_cmp_neq_f64_e64 s3, s[18:19], 0
	s_or_b32 s2, s2, s3
.LBB7_2:
	s_delay_alu instid0(SALU_CYCLE_1)
	s_and_not1_b32 vcc_lo, exec_lo, s2
	s_cbranch_vccnz .LBB7_36
; %bb.3:
	s_load_b32 s31, s[0:1], 0x80
	s_bfe_u32 s2, ttmp6, 0x40014
	s_lshr_b32 s4, ttmp7, 16
	s_add_co_i32 s2, s2, 1
	s_bfe_u32 s5, ttmp6, 0x40008
	s_mul_i32 s2, s4, s2
	s_getreg_b32 s3, hwreg(HW_REG_IB_STS2, 6, 4)
	s_add_co_i32 s5, s5, s2
	s_cmp_eq_u32 s3, 0
	s_mov_b32 s7, 0
	s_cselect_b32 s6, s4, s5
	s_wait_kmcnt 0x0
	s_cmp_ge_u32 s6, s31
	s_cbranch_scc1 .LBB7_36
; %bb.4:
	s_clause 0x1
	s_load_b64 s[4:5], s[0:1], 0x0
	s_load_b128 s[24:27], s[0:1], 0x30
	s_xor_b32 s33, s30, -1
	s_load_b64 s[28:29], s[0:1], 0x70
	v_bfe_u32 v1, v0, 10, 10
	v_and_b32_e32 v4, 0x3ff, v0
	v_cmp_neq_f64_e64 s37, s[18:19], 0
	v_and_b32_e32 v0, 63, v0
	s_delay_alu instid0(VALU_DEP_3) | instskip(NEXT) | instid1(VALU_DEP_1)
	v_lshl_add_u32 v5, v1, 6, v4
	v_lshrrev_b32_e32 v12, 6, v5
	v_cmp_gt_u32_e32 vcc_lo, 64, v5
	s_delay_alu instid0(VALU_DEP_4)
	v_and_or_b32 v6, 0x1ffc0, v5, v0
	s_wait_kmcnt 0x0
	s_bitcmp1_b32 s4, 0
	s_mov_b32 s38, s5
	s_cselect_b32 s2, -1, 0
	s_bfe_u32 s4, ttmp6, 0x4000c
	s_and_b32 s34, ttmp6, 15
	s_add_co_i32 s4, s4, 1
	v_lshlrev_b32_e32 v24, 4, v6
	s_mul_i32 s4, ttmp9, s4
	s_delay_alu instid0(SALU_CYCLE_1)
	s_add_co_i32 s34, s34, s4
	s_cmp_eq_u32 s3, 0
	v_cmp_neq_f64_e64 s4, s[16:17], 0
	s_cselect_b32 s3, ttmp9, s34
	s_load_b64 s[34:35], s[0:1], 0x40
	v_add_nc_u32_e32 v2, s3, v1
	v_lshl_or_b32 v25, s3, 6, v0
	v_lshlrev_b32_e32 v1, 10, v1
	s_lshl_b32 s36, s5, 1
	s_ashr_i32 s39, s5, 31
	v_lshl_add_u32 v8, v2, 6, v4
	s_wait_xcnt 0x0
	v_cmp_gt_i32_e64 s1, s5, v25
	v_lshlrev_b32_e32 v4, 4, v4
	v_cmp_gt_i32_e64 s0, s5, v12
	s_lshl_b64 s[14:15], s[14:15], 4
	v_ashrrev_i32_e32 v9, 31, v8
	v_cmp_gt_i32_e64 s3, s5, v8
	s_lshl_b64 s[26:27], s[26:27], 4
	s_lshl_b64 s[22:23], s[22:23], 4
	v_mul_u64_e32 v[10:11], s[28:29], v[8:9]
	v_mov_b32_e32 v9, 0
	s_delay_alu instid0(VALU_DEP_1) | instskip(SKIP_3) | instid1(VALU_DEP_2)
	v_mov_b32_e32 v13, v9
	v_mul_u64_e32 v[14:15], s[28:29], v[8:9]
	s_wait_kmcnt 0x0
	s_lshl_b64 s[28:29], s[34:35], 8
	v_mul_u64_e32 v[2:3], s[34:35], v[12:13]
	s_or_b32 s35, s36, 1
	v_add_nc_u32_e32 v13, v4, v1
	s_or_b32 s37, s4, s37
	s_and_b32 s34, vcc_lo, s1
	s_delay_alu instid0(SALU_CYCLE_1) | instskip(SKIP_3) | instid1(VALU_DEP_1)
	s_and_b32 s36, s34, s3
	v_cmp_gt_i64_e64 s3, s[38:39], v[8:9]
	s_xor_b32 s38, s2, -1
	v_lshlrev_b64_e32 v[16:17], 4, v[2:3]
	v_or_b32_e32 v16, 8, v16
	s_branch .LBB7_6
.LBB7_5:                                ;   in Loop: Header=BB7_6 Depth=1
	s_wait_xcnt 0x0
	s_or_b32 exec_lo, exec_lo, s4
	s_add_co_i32 s6, s6, 0x10000
	s_delay_alu instid0(SALU_CYCLE_1)
	s_cmp_lt_u32 s6, s31
	s_cbranch_scc0 .LBB7_36
.LBB7_6:                                ; =>This Loop Header: Depth=1
                                        ;     Child Loop BB7_22 Depth 2
	s_and_not1_b32 vcc_lo, exec_lo, s33
	s_mov_b32 s4, -1
	s_cbranch_vccz .LBB7_15
; %bb.7:                                ;   in Loop: Header=BB7_6 Depth=1
	v_mov_b64_e32 v[6:7], 0
	v_mov_b64_e32 v[4:5], 0
	s_and_not1_b32 vcc_lo, exec_lo, s4
	s_cbranch_vccz .LBB7_16
.LBB7_8:                                ;   in Loop: Header=BB7_6 Depth=1
	s_and_not1_b32 vcc_lo, exec_lo, s30
	s_cbranch_vccnz .LBB7_10
.LBB7_9:                                ;   in Loop: Header=BB7_6 Depth=1
	s_wait_xcnt 0x0
	s_lshl_b64 s[40:41], s[6:7], 3
	s_delay_alu instid0(SALU_CYCLE_1)
	s_add_nc_u64 s[40:41], s[24:25], s[40:41]
	global_load_b64 v[0:1], v9, s[40:41]
	s_wait_loadcnt 0x0
	v_add_nc_u64_e32 v[6:7], s[26:27], v[0:1]
.LBB7_10:                               ;   in Loop: Header=BB7_6 Depth=1
	s_wait_xcnt 0x0
	s_lshl_b64 s[40:41], s[6:7], 3
	s_and_not1_b32 vcc_lo, exec_lo, s33
	s_add_nc_u64 s[40:41], s[20:21], s[40:41]
	global_load_b64 v[0:1], v9, s[40:41]
	s_wait_loadcnt 0x0
	v_add_nc_u64_e32 v[18:19], s[22:23], v[0:1]
	s_cbranch_vccnz .LBB7_17
; %bb.11:                               ;   in Loop: Header=BB7_6 Depth=1
	s_mov_b32 s4, 0
	s_mov_b32 s39, 0
                                        ; implicit-def: $vgpr2_vgpr3
	s_wait_xcnt 0x0
	s_and_saveexec_b32 s40, s36
	s_cbranch_execz .LBB7_25
; %bb.12:                               ;   in Loop: Header=BB7_6 Depth=1
	v_mov_b64_e32 v[2:3], 0
	v_mov_b64_e32 v[0:1], 0
	s_and_not1_b32 vcc_lo, exec_lo, s37
	s_cbranch_vccnz .LBB7_14
; %bb.13:                               ;   in Loop: Header=BB7_6 Depth=1
	v_lshl_add_u64 v[0:1], v[10:11], 4, v[18:19]
	flat_load_b128 v[20:23], v[0:1]
	s_wait_loadcnt_dscnt 0x0
	s_wait_xcnt 0x0
	v_mul_f64_e32 v[0:1], s[18:19], v[22:23]
	v_mul_f64_e32 v[2:3], s[16:17], v[22:23]
	s_delay_alu instid0(VALU_DEP_2) | instskip(NEXT) | instid1(VALU_DEP_2)
	v_fma_f64 v[0:1], s[16:17], v[20:21], -v[0:1]
	v_fmac_f64_e32 v[2:3], s[18:19], v[20:21]
.LBB7_14:                               ;   in Loop: Header=BB7_6 Depth=1
	s_mov_b32 s39, exec_lo
	s_or_b32 exec_lo, exec_lo, s40
	s_delay_alu instid0(SALU_CYCLE_1)
	s_and_b32 vcc_lo, exec_lo, s4
	s_cbranch_vccnz .LBB7_18
	s_branch .LBB7_26
.LBB7_15:                               ;   in Loop: Header=BB7_6 Depth=1
	v_mov_b64_e32 v[6:7], 0
	v_mov_b64_e32 v[4:5], 0
	s_cbranch_execnz .LBB7_8
.LBB7_16:                               ;   in Loop: Header=BB7_6 Depth=1
	s_lshl_b64 s[40:41], s[6:7], 3
	s_delay_alu instid0(SALU_CYCLE_1)
	s_add_nc_u64 s[40:41], s[12:13], s[40:41]
	global_load_b64 v[0:1], v9, s[40:41]
	s_wait_loadcnt 0x0
	v_add_nc_u64_e32 v[4:5], s[14:15], v[0:1]
	s_and_not1_b32 vcc_lo, exec_lo, s30
	s_cbranch_vccz .LBB7_9
	s_branch .LBB7_10
.LBB7_17:                               ;   in Loop: Header=BB7_6 Depth=1
	s_mov_b32 s39, 0
                                        ; implicit-def: $vgpr2_vgpr3
	s_cbranch_execz .LBB7_26
.LBB7_18:                               ;   in Loop: Header=BB7_6 Depth=1
	v_mov_b64_e32 v[2:3], 0
	v_mov_b64_e32 v[0:1], 0
	s_wait_xcnt 0x0
	s_and_saveexec_b32 s40, s0
	s_cbranch_execz .LBB7_28
; %bb.19:                               ;   in Loop: Header=BB7_6 Depth=1
	v_mov_b64_e32 v[2:3], 0
	v_add_nc_u64_e32 v[6:7], v[6:7], v[16:17]
	v_mov_b32_e32 v26, v12
	s_mov_b32 s41, 0
	s_delay_alu instid0(VALU_DEP_3)
	v_mov_b64_e32 v[0:1], v[2:3]
	s_branch .LBB7_22
.LBB7_20:                               ;   in Loop: Header=BB7_22 Depth=2
	s_wait_xcnt 0x0
	s_or_b32 exec_lo, exec_lo, s43
	flat_load_b128 v[28:31], v[6:7] offset:-8
	flat_load_b64 v[32:33], v[22:23]
	s_wait_loadcnt_dscnt 0x101
	s_wait_xcnt 0x0
	v_mul_f64_e32 v[22:23], v[20:21], v[30:31]
	s_wait_loadcnt_dscnt 0x0
	v_mul_f64_e32 v[30:31], v[32:33], v[30:31]
	s_delay_alu instid0(VALU_DEP_2) | instskip(NEXT) | instid1(VALU_DEP_2)
	v_fma_f64 v[22:23], v[32:33], v[28:29], -v[22:23]
	v_fmac_f64_e32 v[30:31], v[20:21], v[28:29]
	s_delay_alu instid0(VALU_DEP_2) | instskip(NEXT) | instid1(VALU_DEP_2)
	v_add_f64_e32 v[0:1], v[0:1], v[22:23]
	v_add_f64_e32 v[2:3], v[2:3], v[30:31]
.LBB7_21:                               ;   in Loop: Header=BB7_22 Depth=2
	s_or_b32 exec_lo, exec_lo, s42
	v_add_nc_u32_e32 v26, 16, v26
	v_add_nc_u64_e32 v[6:7], s[28:29], v[6:7]
	s_delay_alu instid0(VALU_DEP_2) | instskip(SKIP_1) | instid1(SALU_CYCLE_1)
	v_cmp_le_i32_e32 vcc_lo, s5, v26
	s_or_b32 s41, vcc_lo, s41
	s_and_not1_b32 exec_lo, exec_lo, s41
	s_cbranch_execz .LBB7_27
.LBB7_22:                               ;   Parent Loop BB7_6 Depth=1
                                        ; =>  This Inner Loop Header: Depth=2
	s_and_saveexec_b32 s42, s1
	s_cbranch_execz .LBB7_21
; %bb.23:                               ;   in Loop: Header=BB7_22 Depth=2
	v_cmp_le_i32_e32 vcc_lo, v25, v26
	v_cmp_ge_i32_e64 s4, v25, v26
	s_or_b32 s43, s38, vcc_lo
	s_or_b32 s4, s2, s4
	s_delay_alu instid0(SALU_CYCLE_1) | instskip(SKIP_2) | instid1(VALU_DEP_1)
	s_and_b32 vcc_lo, s43, s4
	s_mov_b32 s43, exec_lo
	v_dual_cndmask_b32 v27, v26, v25 :: v_dual_cndmask_b32 v20, v25, v26
	v_dual_sub_nc_u32 v8, s35, v20 :: v_dual_add_nc_u32 v21, 1, v20
	s_delay_alu instid0(VALU_DEP_1) | instskip(NEXT) | instid1(VALU_DEP_1)
	v_dual_cndmask_b32 v22, v8, v21, s2 :: v_dual_ashrrev_i32 v21, 31, v20
	v_ashrrev_i32_e32 v23, 31, v22
	s_delay_alu instid0(VALU_DEP_1) | instskip(NEXT) | instid1(VALU_DEP_1)
	v_mul_u64_e32 v[22:23], v[22:23], v[20:21]
	v_lshrrev_b32_e32 v8, 31, v23
	s_delay_alu instid0(VALU_DEP_1) | instskip(SKIP_2) | instid1(VALU_DEP_2)
	v_add_nc_u64_e32 v[22:23], v[22:23], v[8:9]
	v_cndmask_b32_e64 v8, v20, 0, s2
	v_mov_b64_e32 v[20:21], 0
	v_sub_nc_u32_e32 v28, v27, v8
	s_delay_alu instid0(VALU_DEP_4) | instskip(NEXT) | instid1(VALU_DEP_1)
	v_lshlrev_b64_e32 v[22:23], 3, v[22:23]
	v_dual_ashrrev_i32 v29, 31, v28 :: v_dual_bitop2_b32 v22, -16, v22 bitop3:0x40
	s_delay_alu instid0(VALU_DEP_1) | instskip(NEXT) | instid1(VALU_DEP_1)
	v_add_nc_u64_e32 v[22:23], v[4:5], v[22:23]
	v_lshl_add_u64 v[22:23], v[28:29], 4, v[22:23]
	v_cmpx_ne_u32_e64 v25, v26
	s_cbranch_execz .LBB7_20
; %bb.24:                               ;   in Loop: Header=BB7_22 Depth=2
	flat_load_b64 v[20:21], v[22:23] offset:8
	s_wait_loadcnt_dscnt 0x0
	v_xor_b32_e32 v8, 0x80000000, v21
	s_delay_alu instid0(VALU_DEP_1)
	v_cndmask_b32_e32 v21, v8, v21, vcc_lo
	s_branch .LBB7_20
.LBB7_25:                               ;   in Loop: Header=BB7_6 Depth=1
	s_or_b32 exec_lo, exec_lo, s40
	s_delay_alu instid0(SALU_CYCLE_1)
	s_and_b32 vcc_lo, exec_lo, s4
	s_cbranch_vccnz .LBB7_18
.LBB7_26:                               ;   in Loop: Header=BB7_6 Depth=1
	v_mov_b64_e32 v[4:5], v[10:11]
	s_wait_xcnt 0x0
	s_and_saveexec_b32 s4, s39
	s_cbranch_execz .LBB7_5
	s_branch .LBB7_35
.LBB7_27:                               ;   in Loop: Header=BB7_6 Depth=1
	s_or_b32 exec_lo, exec_lo, s41
.LBB7_28:                               ;   in Loop: Header=BB7_6 Depth=1
	s_delay_alu instid0(SALU_CYCLE_1)
	s_or_b32 exec_lo, exec_lo, s40
	ds_store_b128 v24, v[0:3]
	s_wait_dscnt 0x0
	s_barrier_signal -1
	s_barrier_wait -1
                                        ; implicit-def: $vgpr2_vgpr3
	s_and_saveexec_b32 s4, s34
	s_cbranch_execz .LBB7_34
; %bb.29:                               ;   in Loop: Header=BB7_6 Depth=1
	ds_load_b128 v[0:3], v13
	ds_load_b128 v[4:7], v13 offset:1024
	s_mov_b32 s41, s39
	s_wait_dscnt 0x0
	v_add_f64_e32 v[20:21], v[0:1], v[4:5]
	v_add_f64_e32 v[22:23], v[2:3], v[6:7]
	ds_load_b128 v[0:3], v13 offset:2048
	ds_load_b128 v[4:7], v13 offset:3072
	s_wait_dscnt 0x1
	v_add_f64_e32 v[0:1], v[20:21], v[0:1]
	v_add_f64_e32 v[2:3], v[22:23], v[2:3]
	s_wait_dscnt 0x0
	s_delay_alu instid0(VALU_DEP_2) | instskip(NEXT) | instid1(VALU_DEP_2)
	v_add_f64_e32 v[20:21], v[0:1], v[4:5]
	v_add_f64_e32 v[22:23], v[2:3], v[6:7]
	ds_load_b128 v[0:3], v13 offset:4096
	ds_load_b128 v[4:7], v13 offset:5120
	s_wait_dscnt 0x1
	v_add_f64_e32 v[0:1], v[20:21], v[0:1]
	v_add_f64_e32 v[2:3], v[22:23], v[2:3]
	s_wait_dscnt 0x0
	s_delay_alu instid0(VALU_DEP_2) | instskip(NEXT) | instid1(VALU_DEP_2)
	;; [unrolled: 9-line block ×4, first 2 shown]
	v_add_f64_e32 v[0:1], v[0:1], v[4:5]
	v_add_f64_e32 v[2:3], v[2:3], v[6:7]
	ds_load_b128 v[4:7], v13 offset:10240
	ds_load_b128 v[20:23], v13 offset:11264
	s_wait_dscnt 0x1
	v_add_f64_e32 v[26:27], v[0:1], v[4:5]
	v_add_f64_e32 v[28:29], v[2:3], v[6:7]
	ds_load_b128 v[4:7], v13 offset:12288
	ds_load_b128 v[30:33], v13 offset:13312
	s_wait_dscnt 0x2
	v_add_f64_e32 v[20:21], v[26:27], v[20:21]
	v_add_f64_e32 v[22:23], v[28:29], v[22:23]
	s_wait_dscnt 0x1
	s_delay_alu instid0(VALU_DEP_2) | instskip(NEXT) | instid1(VALU_DEP_2)
	v_add_f64_e32 v[34:35], v[20:21], v[4:5]
	v_add_f64_e32 v[36:37], v[22:23], v[6:7]
	ds_load_b128 v[4:7], v13 offset:14336
	ds_load_b128 v[38:41], v13 offset:15360
	s_wait_dscnt 0x2
	v_add_f64_e32 v[30:31], v[34:35], v[30:31]
	v_add_f64_e32 v[32:33], v[36:37], v[32:33]
	s_wait_dscnt 0x1
	s_delay_alu instid0(VALU_DEP_2) | instskip(NEXT) | instid1(VALU_DEP_2)
	v_add_f64_e32 v[42:43], v[30:31], v[4:5]
	v_add_f64_e32 v[44:45], v[32:33], v[6:7]
	ds_store_b128 v13, v[0:3]
	ds_store_b128 v13, v[26:29]
	ds_store_b128 v13, v[20:23]
	ds_store_b128 v13, v[34:37]
	ds_store_b128 v13, v[30:33]
	ds_store_b128 v13, v[42:45]
                                        ; implicit-def: $vgpr2_vgpr3
	s_wait_dscnt 0x6
	v_add_f64_e32 v[4:5], v[42:43], v[38:39]
	v_add_f64_e32 v[6:7], v[44:45], v[40:41]
	ds_store_b128 v13, v[4:7]
	s_and_saveexec_b32 s40, s3
	s_cbranch_execz .LBB7_33
; %bb.30:                               ;   in Loop: Header=BB7_6 Depth=1
	v_mul_f64_e32 v[0:1], s[10:11], v[6:7]
	v_mul_f64_e32 v[2:3], s[8:9], v[6:7]
	s_and_not1_b32 vcc_lo, exec_lo, s37
	s_delay_alu instid0(VALU_DEP_2) | instskip(NEXT) | instid1(VALU_DEP_2)
	v_fma_f64 v[0:1], s[8:9], v[4:5], -v[0:1]
	v_fmac_f64_e32 v[2:3], s[10:11], v[4:5]
	s_cbranch_vccnz .LBB7_32
; %bb.31:                               ;   in Loop: Header=BB7_6 Depth=1
	v_lshl_add_u64 v[4:5], v[14:15], 4, v[18:19]
	flat_load_b128 v[4:7], v[4:5]
	s_wait_loadcnt_dscnt 0x0
	v_mul_f64_e32 v[20:21], s[18:19], v[6:7]
	v_mul_f64_e32 v[6:7], s[16:17], v[6:7]
	s_delay_alu instid0(VALU_DEP_2) | instskip(NEXT) | instid1(VALU_DEP_2)
	v_fma_f64 v[20:21], s[16:17], v[4:5], -v[20:21]
	v_fmac_f64_e32 v[6:7], s[18:19], v[4:5]
	s_delay_alu instid0(VALU_DEP_2) | instskip(NEXT) | instid1(VALU_DEP_2)
	v_add_f64_e32 v[0:1], v[0:1], v[20:21]
	v_add_f64_e32 v[2:3], v[2:3], v[6:7]
.LBB7_32:                               ;   in Loop: Header=BB7_6 Depth=1
	s_or_b32 s41, s39, exec_lo
.LBB7_33:                               ;   in Loop: Header=BB7_6 Depth=1
	s_wait_xcnt 0x0
	s_or_b32 exec_lo, exec_lo, s40
	s_delay_alu instid0(SALU_CYCLE_1) | instskip(SKIP_1) | instid1(SALU_CYCLE_1)
	s_and_not1_b32 s39, s39, exec_lo
	s_and_b32 s40, s41, exec_lo
	s_or_b32 s39, s39, s40
.LBB7_34:                               ;   in Loop: Header=BB7_6 Depth=1
	s_or_b32 exec_lo, exec_lo, s4
	v_mov_b64_e32 v[4:5], v[14:15]
	s_and_saveexec_b32 s4, s39
	s_cbranch_execz .LBB7_5
.LBB7_35:                               ;   in Loop: Header=BB7_6 Depth=1
	s_delay_alu instid0(VALU_DEP_1)
	v_lshl_add_u64 v[4:5], v[4:5], 4, v[18:19]
	flat_store_b128 v[4:5], v[0:3]
	s_branch .LBB7_5
.LBB7_36:
	s_endpgm
	.section	.rodata,"a",@progbits
	.p2align	6, 0x0
	.amdhsa_kernel _ZL19rocblas_hpmv_kernelILi64ELi16E19rocblas_complex_numIdEPKPKS1_PKPS1_EvbiT1_T2_llSA_lllS9_T3_llli
		.amdhsa_group_segment_fixed_size 16384
		.amdhsa_private_segment_fixed_size 0
		.amdhsa_kernarg_size 132
		.amdhsa_user_sgpr_count 2
		.amdhsa_user_sgpr_dispatch_ptr 0
		.amdhsa_user_sgpr_queue_ptr 0
		.amdhsa_user_sgpr_kernarg_segment_ptr 1
		.amdhsa_user_sgpr_dispatch_id 0
		.amdhsa_user_sgpr_kernarg_preload_length 0
		.amdhsa_user_sgpr_kernarg_preload_offset 0
		.amdhsa_user_sgpr_private_segment_size 0
		.amdhsa_wavefront_size32 1
		.amdhsa_uses_dynamic_stack 0
		.amdhsa_enable_private_segment 0
		.amdhsa_system_sgpr_workgroup_id_x 1
		.amdhsa_system_sgpr_workgroup_id_y 0
		.amdhsa_system_sgpr_workgroup_id_z 1
		.amdhsa_system_sgpr_workgroup_info 0
		.amdhsa_system_vgpr_workitem_id 1
		.amdhsa_next_free_vgpr 46
		.amdhsa_next_free_sgpr 44
		.amdhsa_named_barrier_count 0
		.amdhsa_reserve_vcc 1
		.amdhsa_float_round_mode_32 0
		.amdhsa_float_round_mode_16_64 0
		.amdhsa_float_denorm_mode_32 3
		.amdhsa_float_denorm_mode_16_64 3
		.amdhsa_fp16_overflow 0
		.amdhsa_memory_ordered 1
		.amdhsa_forward_progress 1
		.amdhsa_inst_pref_size 15
		.amdhsa_round_robin_scheduling 0
		.amdhsa_exception_fp_ieee_invalid_op 0
		.amdhsa_exception_fp_denorm_src 0
		.amdhsa_exception_fp_ieee_div_zero 0
		.amdhsa_exception_fp_ieee_overflow 0
		.amdhsa_exception_fp_ieee_underflow 0
		.amdhsa_exception_fp_ieee_inexact 0
		.amdhsa_exception_int_div_zero 0
	.end_amdhsa_kernel
	.section	.text._ZL19rocblas_hpmv_kernelILi64ELi16E19rocblas_complex_numIdEPKPKS1_PKPS1_EvbiT1_T2_llSA_lllS9_T3_llli,"axG",@progbits,_ZL19rocblas_hpmv_kernelILi64ELi16E19rocblas_complex_numIdEPKPKS1_PKPS1_EvbiT1_T2_llSA_lllS9_T3_llli,comdat
.Lfunc_end7:
	.size	_ZL19rocblas_hpmv_kernelILi64ELi16E19rocblas_complex_numIdEPKPKS1_PKPS1_EvbiT1_T2_llSA_lllS9_T3_llli, .Lfunc_end7-_ZL19rocblas_hpmv_kernelILi64ELi16E19rocblas_complex_numIdEPKPKS1_PKPS1_EvbiT1_T2_llSA_lllS9_T3_llli
                                        ; -- End function
	.set _ZL19rocblas_hpmv_kernelILi64ELi16E19rocblas_complex_numIdEPKPKS1_PKPS1_EvbiT1_T2_llSA_lllS9_T3_llli.num_vgpr, 46
	.set _ZL19rocblas_hpmv_kernelILi64ELi16E19rocblas_complex_numIdEPKPKS1_PKPS1_EvbiT1_T2_llSA_lllS9_T3_llli.num_agpr, 0
	.set _ZL19rocblas_hpmv_kernelILi64ELi16E19rocblas_complex_numIdEPKPKS1_PKPS1_EvbiT1_T2_llSA_lllS9_T3_llli.numbered_sgpr, 44
	.set _ZL19rocblas_hpmv_kernelILi64ELi16E19rocblas_complex_numIdEPKPKS1_PKPS1_EvbiT1_T2_llSA_lllS9_T3_llli.num_named_barrier, 0
	.set _ZL19rocblas_hpmv_kernelILi64ELi16E19rocblas_complex_numIdEPKPKS1_PKPS1_EvbiT1_T2_llSA_lllS9_T3_llli.private_seg_size, 0
	.set _ZL19rocblas_hpmv_kernelILi64ELi16E19rocblas_complex_numIdEPKPKS1_PKPS1_EvbiT1_T2_llSA_lllS9_T3_llli.uses_vcc, 1
	.set _ZL19rocblas_hpmv_kernelILi64ELi16E19rocblas_complex_numIdEPKPKS1_PKPS1_EvbiT1_T2_llSA_lllS9_T3_llli.uses_flat_scratch, 0
	.set _ZL19rocblas_hpmv_kernelILi64ELi16E19rocblas_complex_numIdEPKPKS1_PKPS1_EvbiT1_T2_llSA_lllS9_T3_llli.has_dyn_sized_stack, 0
	.set _ZL19rocblas_hpmv_kernelILi64ELi16E19rocblas_complex_numIdEPKPKS1_PKPS1_EvbiT1_T2_llSA_lllS9_T3_llli.has_recursion, 0
	.set _ZL19rocblas_hpmv_kernelILi64ELi16E19rocblas_complex_numIdEPKPKS1_PKPS1_EvbiT1_T2_llSA_lllS9_T3_llli.has_indirect_call, 0
	.section	.AMDGPU.csdata,"",@progbits
; Kernel info:
; codeLenInByte = 1804
; TotalNumSgprs: 46
; NumVgprs: 46
; ScratchSize: 0
; MemoryBound: 0
; FloatMode: 240
; IeeeMode: 1
; LDSByteSize: 16384 bytes/workgroup (compile time only)
; SGPRBlocks: 0
; VGPRBlocks: 2
; NumSGPRsForWavesPerEU: 46
; NumVGPRsForWavesPerEU: 46
; NamedBarCnt: 0
; Occupancy: 16
; WaveLimiterHint : 1
; COMPUTE_PGM_RSRC2:SCRATCH_EN: 0
; COMPUTE_PGM_RSRC2:USER_SGPR: 2
; COMPUTE_PGM_RSRC2:TRAP_HANDLER: 0
; COMPUTE_PGM_RSRC2:TGID_X_EN: 1
; COMPUTE_PGM_RSRC2:TGID_Y_EN: 0
; COMPUTE_PGM_RSRC2:TGID_Z_EN: 1
; COMPUTE_PGM_RSRC2:TIDIG_COMP_CNT: 1
	.section	.AMDGPU.gpr_maximums,"",@progbits
	.set amdgpu.max_num_vgpr, 0
	.set amdgpu.max_num_agpr, 0
	.set amdgpu.max_num_sgpr, 0
	.section	.AMDGPU.csdata,"",@progbits
	.type	__hip_cuid_daee06b20160cf2f,@object ; @__hip_cuid_daee06b20160cf2f
	.section	.bss,"aw",@nobits
	.globl	__hip_cuid_daee06b20160cf2f
__hip_cuid_daee06b20160cf2f:
	.byte	0                               ; 0x0
	.size	__hip_cuid_daee06b20160cf2f, 1

	.ident	"AMD clang version 22.0.0git (https://github.com/RadeonOpenCompute/llvm-project roc-7.2.4 26084 f58b06dce1f9c15707c5f808fd002e18c2accf7e)"
	.section	".note.GNU-stack","",@progbits
	.addrsig
	.addrsig_sym __hip_cuid_daee06b20160cf2f
	.amdgpu_metadata
---
amdhsa.kernels:
  - .args:
      - .offset:         0
        .size:           1
        .value_kind:     by_value
      - .offset:         4
        .size:           4
        .value_kind:     by_value
      - .address_space:  global
        .offset:         8
        .size:           8
        .value_kind:     global_buffer
      - .address_space:  global
        .offset:         16
        .size:           8
        .value_kind:     global_buffer
      - .offset:         24
        .size:           8
        .value_kind:     by_value
      - .offset:         32
        .size:           8
        .value_kind:     by_value
      - .address_space:  global
        .offset:         40
        .size:           8
        .value_kind:     global_buffer
      - .offset:         48
        .size:           8
        .value_kind:     by_value
      - .offset:         56
        .size:           8
        .value_kind:     by_value
      - .offset:         64
        .size:           8
        .value_kind:     by_value
      - .address_space:  global
        .offset:         72
        .size:           8
        .value_kind:     global_buffer
      - .address_space:  global
        .offset:         80
        .size:           8
        .value_kind:     global_buffer
      - .offset:         88
        .size:           8
        .value_kind:     by_value
      - .offset:         96
        .size:           8
        .value_kind:     by_value
      - .offset:         104
        .size:           8
        .value_kind:     by_value
      - .offset:         112
        .size:           4
        .value_kind:     by_value
    .group_segment_fixed_size: 8192
    .kernarg_segment_align: 8
    .kernarg_segment_size: 116
    .language:       OpenCL C
    .language_version:
      - 2
      - 0
    .max_flat_workgroup_size: 1024
    .name:           _ZL19rocblas_hpmv_kernelILi64ELi16EPK19rocblas_complex_numIfES3_PS1_EvbiT1_T2_llS6_lllS5_T3_llli
    .private_segment_fixed_size: 0
    .sgpr_count:     46
    .sgpr_spill_count: 0
    .symbol:         _ZL19rocblas_hpmv_kernelILi64ELi16EPK19rocblas_complex_numIfES3_PS1_EvbiT1_T2_llS6_lllS5_T3_llli.kd
    .uniform_work_group_size: 1
    .uses_dynamic_stack: false
    .vgpr_count:     28
    .vgpr_spill_count: 0
    .wavefront_size: 32
  - .args:
      - .offset:         0
        .size:           1
        .value_kind:     by_value
      - .offset:         4
        .size:           4
        .value_kind:     by_value
      - .offset:         8
        .size:           8
        .value_kind:     by_value
      - .address_space:  global
        .offset:         16
        .size:           8
        .value_kind:     global_buffer
      - .offset:         24
        .size:           8
        .value_kind:     by_value
      - .offset:         32
        .size:           8
        .value_kind:     by_value
      - .address_space:  global
        .offset:         40
        .size:           8
        .value_kind:     global_buffer
      - .offset:         48
        .size:           8
        .value_kind:     by_value
      - .offset:         56
        .size:           8
        .value_kind:     by_value
      - .offset:         64
        .size:           8
        .value_kind:     by_value
      - .offset:         72
        .size:           8
        .value_kind:     by_value
      - .address_space:  global
        .offset:         80
        .size:           8
        .value_kind:     global_buffer
      - .offset:         88
        .size:           8
        .value_kind:     by_value
      - .offset:         96
        .size:           8
        .value_kind:     by_value
      - .offset:         104
        .size:           8
        .value_kind:     by_value
      - .offset:         112
        .size:           4
        .value_kind:     by_value
    .group_segment_fixed_size: 8192
    .kernarg_segment_align: 8
    .kernarg_segment_size: 116
    .language:       OpenCL C
    .language_version:
      - 2
      - 0
    .max_flat_workgroup_size: 1024
    .name:           _ZL19rocblas_hpmv_kernelILi64ELi16E19rocblas_complex_numIfEPKS1_PS1_EvbiT1_T2_llS6_lllS5_T3_llli
    .private_segment_fixed_size: 0
    .sgpr_count:     46
    .sgpr_spill_count: 0
    .symbol:         _ZL19rocblas_hpmv_kernelILi64ELi16E19rocblas_complex_numIfEPKS1_PS1_EvbiT1_T2_llS6_lllS5_T3_llli.kd
    .uniform_work_group_size: 1
    .uses_dynamic_stack: false
    .vgpr_count:     28
    .vgpr_spill_count: 0
    .wavefront_size: 32
  - .args:
      - .offset:         0
        .size:           1
        .value_kind:     by_value
      - .offset:         4
        .size:           4
        .value_kind:     by_value
      - .address_space:  global
        .offset:         8
        .size:           8
        .value_kind:     global_buffer
      - .address_space:  global
        .offset:         16
        .size:           8
        .value_kind:     global_buffer
      - .offset:         24
        .size:           8
        .value_kind:     by_value
      - .offset:         32
        .size:           8
        .value_kind:     by_value
      - .address_space:  global
        .offset:         40
        .size:           8
        .value_kind:     global_buffer
      - .offset:         48
        .size:           8
        .value_kind:     by_value
      - .offset:         56
        .size:           8
        .value_kind:     by_value
      - .offset:         64
        .size:           8
        .value_kind:     by_value
      - .address_space:  global
        .offset:         72
        .size:           8
        .value_kind:     global_buffer
      - .address_space:  global
        .offset:         80
        .size:           8
        .value_kind:     global_buffer
      - .offset:         88
        .size:           8
        .value_kind:     by_value
      - .offset:         96
        .size:           8
        .value_kind:     by_value
      - .offset:         104
        .size:           8
        .value_kind:     by_value
      - .offset:         112
        .size:           4
        .value_kind:     by_value
    .group_segment_fixed_size: 16384
    .kernarg_segment_align: 8
    .kernarg_segment_size: 116
    .language:       OpenCL C
    .language_version:
      - 2
      - 0
    .max_flat_workgroup_size: 1024
    .name:           _ZL19rocblas_hpmv_kernelILi64ELi16EPK19rocblas_complex_numIdES3_PS1_EvbiT1_T2_llS6_lllS5_T3_llli
    .private_segment_fixed_size: 0
    .sgpr_count:     47
    .sgpr_spill_count: 0
    .symbol:         _ZL19rocblas_hpmv_kernelILi64ELi16EPK19rocblas_complex_numIdES3_PS1_EvbiT1_T2_llS6_lllS5_T3_llli.kd
    .uniform_work_group_size: 1
    .uses_dynamic_stack: false
    .vgpr_count:     46
    .vgpr_spill_count: 0
    .wavefront_size: 32
  - .args:
      - .offset:         0
        .size:           1
        .value_kind:     by_value
      - .offset:         4
        .size:           4
        .value_kind:     by_value
      - .offset:         8
        .size:           16
        .value_kind:     by_value
      - .address_space:  global
        .offset:         24
        .size:           8
        .value_kind:     global_buffer
      - .offset:         32
        .size:           8
        .value_kind:     by_value
      - .offset:         40
        .size:           8
        .value_kind:     by_value
      - .address_space:  global
        .offset:         48
        .size:           8
        .value_kind:     global_buffer
      - .offset:         56
        .size:           8
        .value_kind:     by_value
      - .offset:         64
        .size:           8
        .value_kind:     by_value
      - .offset:         72
        .size:           8
        .value_kind:     by_value
      - .offset:         80
        .size:           16
        .value_kind:     by_value
      - .address_space:  global
        .offset:         96
        .size:           8
        .value_kind:     global_buffer
      - .offset:         104
        .size:           8
        .value_kind:     by_value
      - .offset:         112
        .size:           8
        .value_kind:     by_value
      - .offset:         120
        .size:           8
        .value_kind:     by_value
      - .offset:         128
        .size:           4
        .value_kind:     by_value
    .group_segment_fixed_size: 16384
    .kernarg_segment_align: 8
    .kernarg_segment_size: 132
    .language:       OpenCL C
    .language_version:
      - 2
      - 0
    .max_flat_workgroup_size: 1024
    .name:           _ZL19rocblas_hpmv_kernelILi64ELi16E19rocblas_complex_numIdEPKS1_PS1_EvbiT1_T2_llS6_lllS5_T3_llli
    .private_segment_fixed_size: 0
    .sgpr_count:     47
    .sgpr_spill_count: 0
    .symbol:         _ZL19rocblas_hpmv_kernelILi64ELi16E19rocblas_complex_numIdEPKS1_PS1_EvbiT1_T2_llS6_lllS5_T3_llli.kd
    .uniform_work_group_size: 1
    .uses_dynamic_stack: false
    .vgpr_count:     46
    .vgpr_spill_count: 0
    .wavefront_size: 32
  - .args:
      - .offset:         0
        .size:           1
        .value_kind:     by_value
      - .offset:         4
        .size:           4
        .value_kind:     by_value
      - .address_space:  global
        .offset:         8
        .size:           8
        .value_kind:     global_buffer
      - .address_space:  global
        .offset:         16
        .size:           8
        .value_kind:     global_buffer
      - .offset:         24
        .size:           8
        .value_kind:     by_value
      - .offset:         32
        .size:           8
        .value_kind:     by_value
      - .address_space:  global
        .offset:         40
        .size:           8
        .value_kind:     global_buffer
      - .offset:         48
        .size:           8
        .value_kind:     by_value
      - .offset:         56
        .size:           8
        .value_kind:     by_value
      - .offset:         64
        .size:           8
        .value_kind:     by_value
      - .address_space:  global
        .offset:         72
        .size:           8
        .value_kind:     global_buffer
      - .address_space:  global
        .offset:         80
        .size:           8
        .value_kind:     global_buffer
      - .offset:         88
        .size:           8
        .value_kind:     by_value
      - .offset:         96
        .size:           8
        .value_kind:     by_value
      - .offset:         104
        .size:           8
        .value_kind:     by_value
      - .offset:         112
        .size:           4
        .value_kind:     by_value
    .group_segment_fixed_size: 8192
    .kernarg_segment_align: 8
    .kernarg_segment_size: 116
    .language:       OpenCL C
    .language_version:
      - 2
      - 0
    .max_flat_workgroup_size: 1024
    .name:           _ZL19rocblas_hpmv_kernelILi64ELi16EPK19rocblas_complex_numIfEPKS3_PKPS1_EvbiT1_T2_llSA_lllS9_T3_llli
    .private_segment_fixed_size: 0
    .sgpr_count:     45
    .sgpr_spill_count: 0
    .symbol:         _ZL19rocblas_hpmv_kernelILi64ELi16EPK19rocblas_complex_numIfEPKS3_PKPS1_EvbiT1_T2_llSA_lllS9_T3_llli.kd
    .uniform_work_group_size: 1
    .uses_dynamic_stack: false
    .vgpr_count:     30
    .vgpr_spill_count: 0
    .wavefront_size: 32
  - .args:
      - .offset:         0
        .size:           1
        .value_kind:     by_value
      - .offset:         4
        .size:           4
        .value_kind:     by_value
      - .offset:         8
        .size:           8
        .value_kind:     by_value
      - .address_space:  global
        .offset:         16
        .size:           8
        .value_kind:     global_buffer
      - .offset:         24
        .size:           8
        .value_kind:     by_value
      - .offset:         32
        .size:           8
        .value_kind:     by_value
      - .address_space:  global
        .offset:         40
        .size:           8
        .value_kind:     global_buffer
      - .offset:         48
        .size:           8
        .value_kind:     by_value
      - .offset:         56
        .size:           8
        .value_kind:     by_value
      - .offset:         64
        .size:           8
        .value_kind:     by_value
      - .offset:         72
        .size:           8
        .value_kind:     by_value
      - .address_space:  global
        .offset:         80
        .size:           8
        .value_kind:     global_buffer
      - .offset:         88
        .size:           8
        .value_kind:     by_value
      - .offset:         96
        .size:           8
        .value_kind:     by_value
      - .offset:         104
        .size:           8
        .value_kind:     by_value
      - .offset:         112
        .size:           4
        .value_kind:     by_value
    .group_segment_fixed_size: 8192
    .kernarg_segment_align: 8
    .kernarg_segment_size: 116
    .language:       OpenCL C
    .language_version:
      - 2
      - 0
    .max_flat_workgroup_size: 1024
    .name:           _ZL19rocblas_hpmv_kernelILi64ELi16E19rocblas_complex_numIfEPKPKS1_PKPS1_EvbiT1_T2_llSA_lllS9_T3_llli
    .private_segment_fixed_size: 0
    .sgpr_count:     45
    .sgpr_spill_count: 0
    .symbol:         _ZL19rocblas_hpmv_kernelILi64ELi16E19rocblas_complex_numIfEPKPKS1_PKPS1_EvbiT1_T2_llSA_lllS9_T3_llli.kd
    .uniform_work_group_size: 1
    .uses_dynamic_stack: false
    .vgpr_count:     30
    .vgpr_spill_count: 0
    .wavefront_size: 32
  - .args:
      - .offset:         0
        .size:           1
        .value_kind:     by_value
      - .offset:         4
        .size:           4
        .value_kind:     by_value
      - .address_space:  global
        .offset:         8
        .size:           8
        .value_kind:     global_buffer
      - .address_space:  global
        .offset:         16
        .size:           8
        .value_kind:     global_buffer
      - .offset:         24
        .size:           8
        .value_kind:     by_value
      - .offset:         32
        .size:           8
        .value_kind:     by_value
      - .address_space:  global
        .offset:         40
        .size:           8
        .value_kind:     global_buffer
      - .offset:         48
        .size:           8
        .value_kind:     by_value
      - .offset:         56
        .size:           8
        .value_kind:     by_value
      - .offset:         64
        .size:           8
        .value_kind:     by_value
      - .address_space:  global
        .offset:         72
        .size:           8
        .value_kind:     global_buffer
      - .address_space:  global
        .offset:         80
        .size:           8
        .value_kind:     global_buffer
      - .offset:         88
        .size:           8
        .value_kind:     by_value
      - .offset:         96
        .size:           8
        .value_kind:     by_value
      - .offset:         104
        .size:           8
        .value_kind:     by_value
      - .offset:         112
        .size:           4
        .value_kind:     by_value
    .group_segment_fixed_size: 16384
    .kernarg_segment_align: 8
    .kernarg_segment_size: 116
    .language:       OpenCL C
    .language_version:
      - 2
      - 0
    .max_flat_workgroup_size: 1024
    .name:           _ZL19rocblas_hpmv_kernelILi64ELi16EPK19rocblas_complex_numIdEPKS3_PKPS1_EvbiT1_T2_llSA_lllS9_T3_llli
    .private_segment_fixed_size: 0
    .sgpr_count:     46
    .sgpr_spill_count: 0
    .symbol:         _ZL19rocblas_hpmv_kernelILi64ELi16EPK19rocblas_complex_numIdEPKS3_PKPS1_EvbiT1_T2_llSA_lllS9_T3_llli.kd
    .uniform_work_group_size: 1
    .uses_dynamic_stack: false
    .vgpr_count:     46
    .vgpr_spill_count: 0
    .wavefront_size: 32
  - .args:
      - .offset:         0
        .size:           1
        .value_kind:     by_value
      - .offset:         4
        .size:           4
        .value_kind:     by_value
      - .offset:         8
        .size:           16
        .value_kind:     by_value
      - .address_space:  global
        .offset:         24
        .size:           8
        .value_kind:     global_buffer
      - .offset:         32
        .size:           8
        .value_kind:     by_value
      - .offset:         40
        .size:           8
        .value_kind:     by_value
      - .address_space:  global
        .offset:         48
        .size:           8
        .value_kind:     global_buffer
      - .offset:         56
        .size:           8
        .value_kind:     by_value
      - .offset:         64
        .size:           8
        .value_kind:     by_value
      - .offset:         72
        .size:           8
        .value_kind:     by_value
      - .offset:         80
        .size:           16
        .value_kind:     by_value
      - .address_space:  global
        .offset:         96
        .size:           8
        .value_kind:     global_buffer
      - .offset:         104
        .size:           8
        .value_kind:     by_value
      - .offset:         112
        .size:           8
        .value_kind:     by_value
      - .offset:         120
        .size:           8
        .value_kind:     by_value
      - .offset:         128
        .size:           4
        .value_kind:     by_value
    .group_segment_fixed_size: 16384
    .kernarg_segment_align: 8
    .kernarg_segment_size: 132
    .language:       OpenCL C
    .language_version:
      - 2
      - 0
    .max_flat_workgroup_size: 1024
    .name:           _ZL19rocblas_hpmv_kernelILi64ELi16E19rocblas_complex_numIdEPKPKS1_PKPS1_EvbiT1_T2_llSA_lllS9_T3_llli
    .private_segment_fixed_size: 0
    .sgpr_count:     46
    .sgpr_spill_count: 0
    .symbol:         _ZL19rocblas_hpmv_kernelILi64ELi16E19rocblas_complex_numIdEPKPKS1_PKPS1_EvbiT1_T2_llSA_lllS9_T3_llli.kd
    .uniform_work_group_size: 1
    .uses_dynamic_stack: false
    .vgpr_count:     46
    .vgpr_spill_count: 0
    .wavefront_size: 32
amdhsa.target:   amdgcn-amd-amdhsa--gfx1250
amdhsa.version:
  - 1
  - 2
...

	.end_amdgpu_metadata
